;; amdgpu-corpus repo=ROCm/composable_kernel kind=compiled arch=gfx90a opt=O3
	.text
	.amdgcn_target "amdgcn-amd-amdhsa--gfx90a"
	.amdhsa_code_object_version 6
	.section	.text._ZN2ckL12flush_icacheEv,"axG",@progbits,_ZN2ckL12flush_icacheEv,comdat
	.globl	_ZN2ckL12flush_icacheEv         ; -- Begin function _ZN2ckL12flush_icacheEv
	.p2align	8
	.type	_ZN2ckL12flush_icacheEv,@function
_ZN2ckL12flush_icacheEv:                ; @_ZN2ckL12flush_icacheEv
; %bb.0:
	;;#ASMSTART
	s_icache_inv 
	s_nop 0 
	s_nop 0 
	;; [unrolled: 1-line block ×16, first 2 shown]
	
	;;#ASMEND
	s_endpgm
	.section	.rodata,"a",@progbits
	.p2align	6, 0x0
	.amdhsa_kernel _ZN2ckL12flush_icacheEv
		.amdhsa_group_segment_fixed_size 0
		.amdhsa_private_segment_fixed_size 0
		.amdhsa_kernarg_size 0
		.amdhsa_user_sgpr_count 4
		.amdhsa_user_sgpr_private_segment_buffer 1
		.amdhsa_user_sgpr_dispatch_ptr 0
		.amdhsa_user_sgpr_queue_ptr 0
		.amdhsa_user_sgpr_kernarg_segment_ptr 0
		.amdhsa_user_sgpr_dispatch_id 0
		.amdhsa_user_sgpr_flat_scratch_init 0
		.amdhsa_user_sgpr_kernarg_preload_length 0
		.amdhsa_user_sgpr_kernarg_preload_offset 0
		.amdhsa_user_sgpr_private_segment_size 0
		.amdhsa_uses_dynamic_stack 0
		.amdhsa_system_sgpr_private_segment_wavefront_offset 0
		.amdhsa_system_sgpr_workgroup_id_x 1
		.amdhsa_system_sgpr_workgroup_id_y 0
		.amdhsa_system_sgpr_workgroup_id_z 0
		.amdhsa_system_sgpr_workgroup_info 0
		.amdhsa_system_vgpr_workitem_id 0
		.amdhsa_next_free_vgpr 1
		.amdhsa_next_free_sgpr 0
		.amdhsa_accum_offset 4
		.amdhsa_reserve_vcc 0
		.amdhsa_reserve_flat_scratch 0
		.amdhsa_float_round_mode_32 0
		.amdhsa_float_round_mode_16_64 0
		.amdhsa_float_denorm_mode_32 3
		.amdhsa_float_denorm_mode_16_64 3
		.amdhsa_dx10_clamp 1
		.amdhsa_ieee_mode 1
		.amdhsa_fp16_overflow 0
		.amdhsa_tg_split 0
		.amdhsa_exception_fp_ieee_invalid_op 0
		.amdhsa_exception_fp_denorm_src 0
		.amdhsa_exception_fp_ieee_div_zero 0
		.amdhsa_exception_fp_ieee_overflow 0
		.amdhsa_exception_fp_ieee_underflow 0
		.amdhsa_exception_fp_ieee_inexact 0
		.amdhsa_exception_int_div_zero 0
	.end_amdhsa_kernel
	.section	.text._ZN2ckL12flush_icacheEv,"axG",@progbits,_ZN2ckL12flush_icacheEv,comdat
.Lfunc_end0:
	.size	_ZN2ckL12flush_icacheEv, .Lfunc_end0-_ZN2ckL12flush_icacheEv
                                        ; -- End function
	.section	.AMDGPU.csdata,"",@progbits
; Kernel info:
; codeLenInByte = 140
; NumSgprs: 4
; NumVgprs: 0
; NumAgprs: 0
; TotalNumVgprs: 0
; ScratchSize: 0
; MemoryBound: 0
; FloatMode: 240
; IeeeMode: 1
; LDSByteSize: 0 bytes/workgroup (compile time only)
; SGPRBlocks: 0
; VGPRBlocks: 0
; NumSGPRsForWavesPerEU: 4
; NumVGPRsForWavesPerEU: 1
; AccumOffset: 4
; Occupancy: 8
; WaveLimiterHint : 0
; COMPUTE_PGM_RSRC2:SCRATCH_EN: 0
; COMPUTE_PGM_RSRC2:USER_SGPR: 4
; COMPUTE_PGM_RSRC2:TRAP_HANDLER: 0
; COMPUTE_PGM_RSRC2:TGID_X_EN: 1
; COMPUTE_PGM_RSRC2:TGID_Y_EN: 0
; COMPUTE_PGM_RSRC2:TGID_Z_EN: 0
; COMPUTE_PGM_RSRC2:TIDIG_COMP_CNT: 0
; COMPUTE_PGM_RSRC3_GFX90A:ACCUM_OFFSET: 0
; COMPUTE_PGM_RSRC3_GFX90A:TG_SPLIT: 0
	.section	.text._ZN2ck27kernel_gemm_xdl_cshuffle_v1INS_43GridwiseGemm_k0mk1_k0nk1_mn_xdl_cshuffle_v1INS_13tensor_layout4gemm8RowMajorENS3_11ColumnMajorES4_NS_9f8_fnuz_tEDF16_fDF16_DF16_NS_16tensor_operation12element_wise11PassThroughES9_S9_LNS7_6device18GemmSpecializationE0ELNS_25InMemoryDataOperationEnumE0ELi1ELi256ELi256ELi128ELi32ELi8ELi8ELi16ELi16ELi8ELi4ENS_8SequenceIJLi4ELi64ELi1EEEENSD_IJLi1ELi0ELi2EEEESF_Li2ELi8ELi8ELb0ELi1ESE_SF_SF_Li2ELi8ELi8ELb0ELi1ELi1ELi1ENSD_IJLi1ELi32ELi1ELi8EEEELi4ELNS_13LoopSchedulerE0ELNS_15PipelineVersionE0EDF16_DF16_EELb1EEEvNT_8ArgumentE,"axG",@progbits,_ZN2ck27kernel_gemm_xdl_cshuffle_v1INS_43GridwiseGemm_k0mk1_k0nk1_mn_xdl_cshuffle_v1INS_13tensor_layout4gemm8RowMajorENS3_11ColumnMajorES4_NS_9f8_fnuz_tEDF16_fDF16_DF16_NS_16tensor_operation12element_wise11PassThroughES9_S9_LNS7_6device18GemmSpecializationE0ELNS_25InMemoryDataOperationEnumE0ELi1ELi256ELi256ELi128ELi32ELi8ELi8ELi16ELi16ELi8ELi4ENS_8SequenceIJLi4ELi64ELi1EEEENSD_IJLi1ELi0ELi2EEEESF_Li2ELi8ELi8ELb0ELi1ESE_SF_SF_Li2ELi8ELi8ELb0ELi1ELi1ELi1ENSD_IJLi1ELi32ELi1ELi8EEEELi4ELNS_13LoopSchedulerE0ELNS_15PipelineVersionE0EDF16_DF16_EELb1EEEvNT_8ArgumentE,comdat
	.protected	_ZN2ck27kernel_gemm_xdl_cshuffle_v1INS_43GridwiseGemm_k0mk1_k0nk1_mn_xdl_cshuffle_v1INS_13tensor_layout4gemm8RowMajorENS3_11ColumnMajorES4_NS_9f8_fnuz_tEDF16_fDF16_DF16_NS_16tensor_operation12element_wise11PassThroughES9_S9_LNS7_6device18GemmSpecializationE0ELNS_25InMemoryDataOperationEnumE0ELi1ELi256ELi256ELi128ELi32ELi8ELi8ELi16ELi16ELi8ELi4ENS_8SequenceIJLi4ELi64ELi1EEEENSD_IJLi1ELi0ELi2EEEESF_Li2ELi8ELi8ELb0ELi1ESE_SF_SF_Li2ELi8ELi8ELb0ELi1ELi1ELi1ENSD_IJLi1ELi32ELi1ELi8EEEELi4ELNS_13LoopSchedulerE0ELNS_15PipelineVersionE0EDF16_DF16_EELb1EEEvNT_8ArgumentE ; -- Begin function _ZN2ck27kernel_gemm_xdl_cshuffle_v1INS_43GridwiseGemm_k0mk1_k0nk1_mn_xdl_cshuffle_v1INS_13tensor_layout4gemm8RowMajorENS3_11ColumnMajorES4_NS_9f8_fnuz_tEDF16_fDF16_DF16_NS_16tensor_operation12element_wise11PassThroughES9_S9_LNS7_6device18GemmSpecializationE0ELNS_25InMemoryDataOperationEnumE0ELi1ELi256ELi256ELi128ELi32ELi8ELi8ELi16ELi16ELi8ELi4ENS_8SequenceIJLi4ELi64ELi1EEEENSD_IJLi1ELi0ELi2EEEESF_Li2ELi8ELi8ELb0ELi1ESE_SF_SF_Li2ELi8ELi8ELb0ELi1ELi1ELi1ENSD_IJLi1ELi32ELi1ELi8EEEELi4ELNS_13LoopSchedulerE0ELNS_15PipelineVersionE0EDF16_DF16_EELb1EEEvNT_8ArgumentE
	.globl	_ZN2ck27kernel_gemm_xdl_cshuffle_v1INS_43GridwiseGemm_k0mk1_k0nk1_mn_xdl_cshuffle_v1INS_13tensor_layout4gemm8RowMajorENS3_11ColumnMajorES4_NS_9f8_fnuz_tEDF16_fDF16_DF16_NS_16tensor_operation12element_wise11PassThroughES9_S9_LNS7_6device18GemmSpecializationE0ELNS_25InMemoryDataOperationEnumE0ELi1ELi256ELi256ELi128ELi32ELi8ELi8ELi16ELi16ELi8ELi4ENS_8SequenceIJLi4ELi64ELi1EEEENSD_IJLi1ELi0ELi2EEEESF_Li2ELi8ELi8ELb0ELi1ESE_SF_SF_Li2ELi8ELi8ELb0ELi1ELi1ELi1ENSD_IJLi1ELi32ELi1ELi8EEEELi4ELNS_13LoopSchedulerE0ELNS_15PipelineVersionE0EDF16_DF16_EELb1EEEvNT_8ArgumentE
	.p2align	8
	.type	_ZN2ck27kernel_gemm_xdl_cshuffle_v1INS_43GridwiseGemm_k0mk1_k0nk1_mn_xdl_cshuffle_v1INS_13tensor_layout4gemm8RowMajorENS3_11ColumnMajorES4_NS_9f8_fnuz_tEDF16_fDF16_DF16_NS_16tensor_operation12element_wise11PassThroughES9_S9_LNS7_6device18GemmSpecializationE0ELNS_25InMemoryDataOperationEnumE0ELi1ELi256ELi256ELi128ELi32ELi8ELi8ELi16ELi16ELi8ELi4ENS_8SequenceIJLi4ELi64ELi1EEEENSD_IJLi1ELi0ELi2EEEESF_Li2ELi8ELi8ELb0ELi1ESE_SF_SF_Li2ELi8ELi8ELb0ELi1ELi1ELi1ENSD_IJLi1ELi32ELi1ELi8EEEELi4ELNS_13LoopSchedulerE0ELNS_15PipelineVersionE0EDF16_DF16_EELb1EEEvNT_8ArgumentE,@function
_ZN2ck27kernel_gemm_xdl_cshuffle_v1INS_43GridwiseGemm_k0mk1_k0nk1_mn_xdl_cshuffle_v1INS_13tensor_layout4gemm8RowMajorENS3_11ColumnMajorES4_NS_9f8_fnuz_tEDF16_fDF16_DF16_NS_16tensor_operation12element_wise11PassThroughES9_S9_LNS7_6device18GemmSpecializationE0ELNS_25InMemoryDataOperationEnumE0ELi1ELi256ELi256ELi128ELi32ELi8ELi8ELi16ELi16ELi8ELi4ENS_8SequenceIJLi4ELi64ELi1EEEENSD_IJLi1ELi0ELi2EEEESF_Li2ELi8ELi8ELb0ELi1ESE_SF_SF_Li2ELi8ELi8ELb0ELi1ELi1ELi1ENSD_IJLi1ELi32ELi1ELi8EEEELi4ELNS_13LoopSchedulerE0ELNS_15PipelineVersionE0EDF16_DF16_EELb1EEEvNT_8ArgumentE: ; @_ZN2ck27kernel_gemm_xdl_cshuffle_v1INS_43GridwiseGemm_k0mk1_k0nk1_mn_xdl_cshuffle_v1INS_13tensor_layout4gemm8RowMajorENS3_11ColumnMajorES4_NS_9f8_fnuz_tEDF16_fDF16_DF16_NS_16tensor_operation12element_wise11PassThroughES9_S9_LNS7_6device18GemmSpecializationE0ELNS_25InMemoryDataOperationEnumE0ELi1ELi256ELi256ELi128ELi32ELi8ELi8ELi16ELi16ELi8ELi4ENS_8SequenceIJLi4ELi64ELi1EEEENSD_IJLi1ELi0ELi2EEEESF_Li2ELi8ELi8ELb0ELi1ESE_SF_SF_Li2ELi8ELi8ELb0ELi1ELi1ELi1ENSD_IJLi1ELi32ELi1ELi8EEEELi4ELNS_13LoopSchedulerE0ELNS_15PipelineVersionE0EDF16_DF16_EELb1EEEvNT_8ArgumentE
; %bb.0:
	s_load_dwordx4 s[0:3], s[4:5], 0x10
	s_load_dwordx2 s[16:17], s[4:5], 0x20
	s_add_u32 s20, 0, 0
	s_load_dwordx4 s[12:15], s[4:5], 0x48
	v_and_b32_e32 v7, 0xfc, v0
	s_waitcnt lgkmcnt(0)
	s_addc_u32 s21, s0, -1
	s_addk_i32 s0, 0xff
	s_ashr_i32 s8, s0, 31
	s_add_i32 s7, s1, 0x7f
	s_lshr_b32 s8, s8, 24
	s_add_i32 s0, s0, s8
	s_ashr_i32 s8, s7, 31
	s_lshr_b32 s8, s8, 25
	s_add_i32 s7, s7, s8
	s_ashr_i32 s0, s0, 8
	s_ashr_i32 s7, s7, 7
	s_mul_i32 s8, s7, s0
	s_abs_i32 s8, s8
	v_cvt_f32_u32_e32 v1, s8
	s_sub_i32 s10, 0, s8
	s_ashr_i32 s9, s6, 31
	s_abs_i32 s6, s6
	v_rcp_iflag_f32_e32 v1, v1
	v_and_b32_e32 v4, 3, v0
	v_mul_f32_e32 v1, 0x4f7ffffe, v1
	v_cvt_u32_f32_e32 v1, v1
	v_readfirstlane_b32 s11, v1
	s_mul_i32 s10, s10, s11
	s_mul_hi_u32 s10, s11, s10
	s_add_i32 s11, s11, s10
	s_mul_hi_u32 s10, s6, s11
	s_mul_i32 s10, s10, s8
	s_sub_i32 s6, s6, s10
	s_sub_i32 s10, s6, s8
	s_cmp_ge_u32 s6, s8
	s_cselect_b32 s6, s10, s6
	s_sub_i32 s10, s6, s8
	s_cmp_ge_u32 s6, s8
	s_cselect_b32 s6, s10, s6
	s_abs_i32 s8, s7
	v_cvt_f32_u32_e32 v1, s8
	s_sub_i32 s11, 0, s8
	s_xor_b32 s6, s6, s9
	s_sub_i32 s6, s6, s9
	v_rcp_iflag_f32_e32 v1, v1
	s_abs_i32 s18, s6
	s_xor_b32 s9, s6, s7
	s_ashr_i32 s9, s9, 31
	v_mul_f32_e32 v1, 0x4f7ffffe, v1
	v_cvt_u32_f32_e32 v1, v1
	s_mul_i32 s10, s21, s3
	v_readfirstlane_b32 s19, v1
	s_mul_i32 s11, s11, s19
	s_mul_hi_u32 s11, s19, s11
	s_add_i32 s19, s19, s11
	s_mul_hi_u32 s11, s18, s19
	s_mul_i32 s19, s11, s8
	s_sub_i32 s18, s18, s19
	s_add_i32 s19, s11, 1
	s_sub_i32 s22, s18, s8
	s_cmp_ge_u32 s18, s8
	s_cselect_b32 s11, s19, s11
	s_cselect_b32 s18, s22, s18
	s_add_i32 s19, s11, 1
	s_cmp_ge_u32 s18, s8
	s_cselect_b32 s8, s19, s11
	s_xor_b32 s8, s8, s9
	s_sub_i32 s8, s8, s9
	s_lshr_b32 s9, s0, 29
	s_add_i32 s9, s0, s9
	s_and_b32 s9, s9, -8
	s_sub_i32 s0, s0, s9
	s_cmp_ge_i32 s8, s9
	s_cselect_b32 s0, s0, 8
	s_abs_i32 s11, s0
	v_cvt_f32_u32_e32 v1, s11
	s_mul_i32 s9, s8, s7
	s_sub_i32 s6, s6, s9
	s_ashr_i32 s9, s8, 31
	v_rcp_iflag_f32_e32 v1, v1
	s_lshr_b32 s9, s9, 29
	s_add_i32 s9, s8, s9
	s_and_b32 s9, s9, -8
	v_mul_f32_e32 v1, 0x4f7ffffe, v1
	v_cvt_u32_f32_e32 v1, v1
	s_sub_i32 s9, s8, s9
	s_sub_i32 s19, 0, s11
	s_mul_i32 s7, s9, s7
	v_readfirstlane_b32 s22, v1
	s_mul_i32 s19, s19, s22
	s_add_i32 s7, s7, s6
	s_mul_hi_u32 s19, s22, s19
	s_abs_i32 s18, s7
	s_add_i32 s22, s22, s19
	s_mul_hi_u32 s19, s18, s22
	s_mul_i32 s22, s19, s11
	s_xor_b32 s6, s7, s0
	s_sub_i32 s18, s18, s22
	s_ashr_i32 s6, s6, 31
	s_add_i32 s22, s19, 1
	s_sub_i32 s23, s18, s11
	s_cmp_ge_u32 s18, s11
	s_cselect_b32 s19, s22, s19
	s_cselect_b32 s18, s23, s18
	s_add_i32 s22, s19, 1
	s_cmp_ge_u32 s18, s11
	s_cselect_b32 s11, s22, s19
	s_xor_b32 s11, s11, s6
	s_sub_i32 s6, s11, s6
	s_mul_i32 s0, s6, s0
	s_sub_i32 s0, s7, s0
	s_add_i32 s0, s0, s8
	s_sub_i32 s0, s0, s9
	s_lshl_b32 s7, s0, 8
	v_add_u32_e32 v6, s7, v7
	v_lshlrev_b32_e32 v1, 3, v4
	v_mul_lo_u32 v5, v6, s3
	v_add_u32_e32 v14, v5, v1
	s_add_i32 s10, s2, s10
	s_mov_b32 s11, 0x20000
	s_mov_b32 s8, s12
	;; [unrolled: 1-line block ×3, first 2 shown]
	buffer_load_dwordx2 v[2:3], v14, s[8:11], 0 offen
	s_load_dword s7, s[4:5], 0x34
	s_load_dwordx2 s[12:13], s[4:5], 0x58
	s_movk_i32 s4, 0x7f
	s_lshl_b32 s22, s6, 7
                                        ; implicit-def: $sgpr23
	s_waitcnt lgkmcnt(0)
	s_ashr_i32 s5, s7, 31
	s_lshr_b32 s5, s5, 30
	s_add_i32 s7, s7, s5
	s_ashr_i32 s28, s7, 2
	s_waitcnt vmcnt(0)
	v_and_b32_e32 v9, 0xff, v2
	v_cmp_lt_i16_e32 vcc, s4, v9
	s_mov_b64 s[4:5], 0
	s_and_saveexec_b64 s[6:7], vcc
	s_xor_b64 s[6:7], exec, s[6:7]
	s_cbranch_execnz .LBB1_387
; %bb.1:
	s_or_saveexec_b64 s[6:7], s[6:7]
	v_mov_b32_e32 v8, s23
	s_xor_b64 exec, exec, s[6:7]
	s_cbranch_execnz .LBB1_390
.LBB1_2:
	s_or_b64 exec, exec, s[6:7]
	s_and_saveexec_b64 s[6:7], s[4:5]
	s_cbranch_execz .LBB1_4
.LBB1_3:
	v_and_b32_e32 v8, 7, v2
	v_ffbh_u32_e32 v11, v8
	v_min_u32_e32 v11, 32, v11
	v_lshrrev_b16_e32 v9, 3, v2
	v_subrev_u32_e32 v12, 28, v11
	v_and_b32_e32 v9, 15, v9
	v_lshlrev_b32_e32 v12, v12, v2
	v_and_b32_e32 v10, 0xffff, v9
	v_sub_u32_e32 v11, 29, v11
	v_and_b32_e32 v12, 7, v12
	v_cmp_eq_u16_e32 vcc, 0, v9
	v_cndmask_b32_e32 v8, v8, v12, vcc
	v_cndmask_b32_e32 v9, v10, v11, vcc
	v_lshlrev_b32_e32 v10, 8, v2
	v_mov_b32_e32 v11, 0x1c00
	v_lshlrev_b32_e32 v8, 7, v8
	v_and_b32_e32 v10, 0x8000, v10
	v_lshl_add_u32 v9, v9, 10, v11
	v_or3_b32 v8, v10, v9, v8
.LBB1_4:
	s_or_b64 exec, exec, s[6:7]
	v_lshrrev_b32_e32 v11, 8, v2
	s_movk_i32 s4, 0x7f
	v_cmp_gt_i16_sdwa s[6:7], v11, s4 src0_sel:BYTE_0 src1_sel:DWORD
	s_mov_b64 s[4:5], 0
                                        ; implicit-def: $sgpr23
	s_and_saveexec_b64 s[18:19], s[6:7]
	s_xor_b64 s[6:7], exec, s[18:19]
	s_cbranch_execnz .LBB1_391
; %bb.5:
	s_or_saveexec_b64 s[6:7], s[6:7]
	v_mov_b32_e32 v9, s23
	s_xor_b64 exec, exec, s[6:7]
	s_cbranch_execnz .LBB1_394
.LBB1_6:
	s_or_b64 exec, exec, s[6:7]
	s_and_saveexec_b64 s[6:7], s[4:5]
	s_cbranch_execz .LBB1_8
.LBB1_7:
	v_bfe_u32 v9, v2, 8, 3
	v_ffbh_u32_e32 v15, v9
	v_min_u32_e32 v15, 32, v15
	v_lshrrev_b16_e32 v12, 3, v11
	v_subrev_u32_e32 v16, 28, v15
	v_and_b32_e32 v12, 15, v12
	v_lshlrev_b32_e32 v16, v16, v11
	v_and_b32_e32 v13, 0xffff, v12
	v_sub_u32_e32 v15, 29, v15
	v_and_b32_e32 v16, 7, v16
	v_cmp_eq_u16_e32 vcc, 0, v12
	v_cndmask_b32_e32 v9, v9, v16, vcc
	v_cndmask_b32_e32 v12, v13, v15, vcc
	v_mov_b32_e32 v13, 0x1c00
	v_and_b32_e32 v10, 0x8000, v2
	v_lshlrev_b32_e32 v9, 7, v9
	v_lshl_add_u32 v12, v12, 10, v13
	v_or3_b32 v9, v10, v12, v9
.LBB1_8:
	s_or_b64 exec, exec, s[6:7]
	s_movk_i32 s4, 0xff
	v_and_b32_sdwa v12, v2, s4 dst_sel:DWORD dst_unused:UNUSED_PAD src0_sel:WORD_1 src1_sel:DWORD
	s_movk_i32 s4, 0x7f
	v_cmp_lt_i16_e32 vcc, s4, v12
	s_mov_b64 s[4:5], 0
                                        ; implicit-def: $sgpr23
	s_and_saveexec_b64 s[6:7], vcc
	s_xor_b64 s[6:7], exec, s[6:7]
	s_cbranch_execnz .LBB1_395
; %bb.9:
	s_or_saveexec_b64 s[6:7], s[6:7]
	v_mov_b32_e32 v10, s23
	s_xor_b64 exec, exec, s[6:7]
	s_cbranch_execnz .LBB1_398
.LBB1_10:
	s_or_b64 exec, exec, s[6:7]
	s_and_saveexec_b64 s[6:7], s[4:5]
	s_cbranch_execz .LBB1_12
.LBB1_11:
	v_bfe_u32 v10, v2, 16, 3
	v_ffbh_u32_e32 v15, v10
	v_min_u32_e32 v15, 32, v15
	v_lshrrev_b32_e32 v12, 19, v2
	v_subrev_u32_e32 v16, 28, v15
	v_and_b32_e32 v12, 15, v12
	v_lshlrev_b32_sdwa v16, v16, v2 dst_sel:DWORD dst_unused:UNUSED_PAD src0_sel:DWORD src1_sel:WORD_1
	v_bfe_u32 v13, v2, 19, 4
	v_sub_u32_e32 v15, 29, v15
	v_and_b32_e32 v16, 7, v16
	v_cmp_eq_u16_e32 vcc, 0, v12
	v_cndmask_b32_e32 v10, v10, v16, vcc
	v_cndmask_b32_e32 v12, v13, v15, vcc
	v_mov_b32_e32 v13, 0x1c00
	v_lshlrev_b32_e32 v10, 7, v10
	v_and_b32_e32 v11, 0x8000, v11
	v_lshl_add_u32 v12, v12, 10, v13
	v_or3_b32 v10, v11, v12, v10
.LBB1_12:
	s_or_b64 exec, exec, s[6:7]
	s_movk_i32 s4, 0x7f
	v_cmp_gt_i16_sdwa s[6:7], v2, s4 src0_sel:BYTE_3 src1_sel:DWORD
	s_mov_b64 s[4:5], 0
                                        ; implicit-def: $sgpr23
	s_and_saveexec_b64 s[18:19], s[6:7]
	s_xor_b64 s[6:7], exec, s[18:19]
	s_cbranch_execnz .LBB1_399
; %bb.13:
	s_or_saveexec_b64 s[6:7], s[6:7]
	v_mov_b32_e32 v11, s23
	s_xor_b64 exec, exec, s[6:7]
	s_cbranch_execnz .LBB1_402
.LBB1_14:
	s_or_b64 exec, exec, s[6:7]
	s_and_saveexec_b64 s[6:7], s[4:5]
	s_cbranch_execz .LBB1_16
.LBB1_15:
	v_bfe_u32 v11, v2, 24, 3
	v_ffbh_u32_e32 v15, v11
	v_min_u32_e32 v15, 32, v15
	v_lshrrev_b32_e32 v12, 27, v2
	v_subrev_u32_e32 v16, 28, v15
	v_and_b32_e32 v12, 15, v12
	v_lshlrev_b32_sdwa v16, v16, v2 dst_sel:DWORD dst_unused:UNUSED_PAD src0_sel:DWORD src1_sel:BYTE_3
	v_bfe_u32 v13, v2, 27, 4
	v_sub_u32_e32 v15, 29, v15
	v_and_b32_e32 v16, 7, v16
	v_cmp_eq_u16_e32 vcc, 0, v12
	v_cndmask_b32_e32 v11, v11, v16, vcc
	v_cndmask_b32_e32 v12, v13, v15, vcc
	s_mov_b32 s4, 0x8000
	v_mov_b32_e32 v13, 0x1c00
	v_lshlrev_b32_e32 v11, 7, v11
	v_and_b32_sdwa v2, v2, s4 dst_sel:DWORD dst_unused:UNUSED_PAD src0_sel:WORD_1 src1_sel:DWORD
	v_lshl_add_u32 v12, v12, 10, v13
	v_or3_b32 v11, v2, v12, v11
.LBB1_16:
	s_or_b64 exec, exec, s[6:7]
	s_movk_i32 s4, 0x7f
	v_cmp_gt_i16_sdwa s[6:7], v3, s4 src0_sel:BYTE_0 src1_sel:DWORD
	s_mov_b64 s[4:5], 0
                                        ; implicit-def: $sgpr23
	s_and_saveexec_b64 s[18:19], s[6:7]
	s_xor_b64 s[6:7], exec, s[18:19]
	s_cbranch_execnz .LBB1_403
; %bb.17:
	s_or_saveexec_b64 s[6:7], s[6:7]
	v_mov_b32_e32 v12, s23
	s_xor_b64 exec, exec, s[6:7]
	s_cbranch_execnz .LBB1_406
.LBB1_18:
	s_or_b64 exec, exec, s[6:7]
	s_and_saveexec_b64 s[6:7], s[4:5]
	s_cbranch_execz .LBB1_20
.LBB1_19:
	v_and_b32_e32 v2, 7, v3
	v_ffbh_u32_e32 v15, v2
	v_min_u32_e32 v15, 32, v15
	v_lshrrev_b16_e32 v12, 3, v3
	v_subrev_u32_e32 v16, 28, v15
	v_and_b32_e32 v12, 15, v12
	v_lshlrev_b32_e32 v16, v16, v3
	v_and_b32_e32 v13, 0xffff, v12
	v_sub_u32_e32 v15, 29, v15
	v_and_b32_e32 v16, 7, v16
	v_cmp_eq_u16_e32 vcc, 0, v12
	v_cndmask_b32_e32 v2, v2, v16, vcc
	v_cndmask_b32_e32 v12, v13, v15, vcc
	v_lshlrev_b32_e32 v13, 8, v3
	v_mov_b32_e32 v15, 0x1c00
	v_lshlrev_b32_e32 v2, 7, v2
	v_and_b32_e32 v13, 0x8000, v13
	v_lshl_add_u32 v12, v12, 10, v15
	v_or3_b32 v12, v13, v12, v2
.LBB1_20:
	s_or_b64 exec, exec, s[6:7]
	v_lshrrev_b32_e32 v2, 8, v3
	s_movk_i32 s4, 0x7f
	v_cmp_gt_i16_sdwa s[6:7], v2, s4 src0_sel:BYTE_0 src1_sel:DWORD
	s_mov_b64 s[4:5], 0
                                        ; implicit-def: $sgpr23
	s_and_saveexec_b64 s[18:19], s[6:7]
	s_xor_b64 s[6:7], exec, s[18:19]
	s_cbranch_execnz .LBB1_407
; %bb.21:
	s_or_saveexec_b64 s[6:7], s[6:7]
	v_mov_b32_e32 v13, s23
	s_xor_b64 exec, exec, s[6:7]
	s_cbranch_execnz .LBB1_410
.LBB1_22:
	s_or_b64 exec, exec, s[6:7]
	s_and_saveexec_b64 s[6:7], s[4:5]
	s_cbranch_execz .LBB1_24
.LBB1_23:
	v_bfe_u32 v13, v3, 8, 3
	v_ffbh_u32_e32 v18, v13
	v_min_u32_e32 v18, 32, v18
	v_lshrrev_b16_e32 v16, 3, v2
	v_subrev_u32_e32 v19, 28, v18
	v_and_b32_e32 v16, 15, v16
	v_lshlrev_b32_e32 v19, v19, v2
	v_and_b32_e32 v17, 0xffff, v16
	v_sub_u32_e32 v18, 29, v18
	v_and_b32_e32 v19, 7, v19
	v_cmp_eq_u16_e32 vcc, 0, v16
	v_cndmask_b32_e32 v13, v13, v19, vcc
	v_cndmask_b32_e32 v16, v17, v18, vcc
	v_mov_b32_e32 v17, 0x1c00
	v_and_b32_e32 v15, 0x8000, v3
	v_lshlrev_b32_e32 v13, 7, v13
	v_lshl_add_u32 v16, v16, 10, v17
	v_or3_b32 v13, v15, v16, v13
.LBB1_24:
	s_or_b64 exec, exec, s[6:7]
	s_movk_i32 s4, 0xff
	v_and_b32_sdwa v16, v3, s4 dst_sel:DWORD dst_unused:UNUSED_PAD src0_sel:WORD_1 src1_sel:DWORD
	s_movk_i32 s4, 0x7f
	v_cmp_lt_i16_e32 vcc, s4, v16
	s_mov_b64 s[4:5], 0
                                        ; implicit-def: $sgpr23
	s_and_saveexec_b64 s[6:7], vcc
	s_xor_b64 s[6:7], exec, s[6:7]
	s_cbranch_execnz .LBB1_411
; %bb.25:
	s_or_saveexec_b64 s[6:7], s[6:7]
	v_mov_b32_e32 v15, s23
	s_xor_b64 exec, exec, s[6:7]
	s_cbranch_execnz .LBB1_414
.LBB1_26:
	s_or_b64 exec, exec, s[6:7]
	s_and_saveexec_b64 s[6:7], s[4:5]
	s_cbranch_execz .LBB1_28
.LBB1_27:
	v_bfe_u32 v15, v3, 16, 3
	v_ffbh_u32_e32 v18, v15
	v_min_u32_e32 v18, 32, v18
	v_lshrrev_b32_e32 v16, 19, v3
	v_subrev_u32_e32 v19, 28, v18
	v_and_b32_e32 v16, 15, v16
	v_lshlrev_b32_sdwa v19, v19, v3 dst_sel:DWORD dst_unused:UNUSED_PAD src0_sel:DWORD src1_sel:WORD_1
	v_bfe_u32 v17, v3, 19, 4
	v_sub_u32_e32 v18, 29, v18
	v_and_b32_e32 v19, 7, v19
	v_cmp_eq_u16_e32 vcc, 0, v16
	v_cndmask_b32_e32 v15, v15, v19, vcc
	v_cndmask_b32_e32 v16, v17, v18, vcc
	v_mov_b32_e32 v17, 0x1c00
	v_lshlrev_b32_e32 v15, 7, v15
	v_and_b32_e32 v2, 0x8000, v2
	v_lshl_add_u32 v16, v16, 10, v17
	v_or3_b32 v15, v2, v16, v15
.LBB1_28:
	s_or_b64 exec, exec, s[6:7]
	s_movk_i32 s4, 0x7f
	v_cmp_gt_i16_sdwa s[6:7], v3, s4 src0_sel:BYTE_3 src1_sel:DWORD
	s_mov_b64 s[4:5], 0
                                        ; implicit-def: $sgpr23
	s_and_saveexec_b64 s[18:19], s[6:7]
	s_xor_b64 s[6:7], exec, s[18:19]
	s_cbranch_execnz .LBB1_415
; %bb.29:
	s_or_saveexec_b64 s[6:7], s[6:7]
	v_mov_b32_e32 v16, s23
	s_xor_b64 exec, exec, s[6:7]
	s_cbranch_execnz .LBB1_418
.LBB1_30:
	s_or_b64 exec, exec, s[6:7]
	s_and_saveexec_b64 s[6:7], s[4:5]
	s_cbranch_execz .LBB1_32
.LBB1_31:
	v_bfe_u32 v2, v3, 24, 3
	v_ffbh_u32_e32 v18, v2
	v_min_u32_e32 v18, 32, v18
	v_lshrrev_b32_e32 v16, 27, v3
	v_subrev_u32_e32 v19, 28, v18
	v_and_b32_e32 v16, 15, v16
	v_lshlrev_b32_sdwa v19, v19, v3 dst_sel:DWORD dst_unused:UNUSED_PAD src0_sel:DWORD src1_sel:BYTE_3
	v_bfe_u32 v17, v3, 27, 4
	v_sub_u32_e32 v18, 29, v18
	v_and_b32_e32 v19, 7, v19
	v_cmp_eq_u16_e32 vcc, 0, v16
	v_cndmask_b32_e32 v2, v2, v19, vcc
	v_cndmask_b32_e32 v16, v17, v18, vcc
	s_mov_b32 s4, 0x8000
	v_mov_b32_e32 v17, 0x1c00
	v_lshlrev_b32_e32 v2, 7, v2
	v_and_b32_sdwa v3, v3, s4 dst_sel:DWORD dst_unused:UNUSED_PAD src0_sel:WORD_1 src1_sel:DWORD
	v_lshl_add_u32 v16, v16, 10, v17
	v_or3_b32 v16, v3, v16, v2
.LBB1_32:
	s_or_b64 exec, exec, s[6:7]
	v_add_u32_e32 v14, s3, v14
	buffer_load_dwordx2 v[2:3], v14, s[8:11], 0 offen
	s_movk_i32 s4, 0x7f
                                        ; implicit-def: $sgpr23
	s_waitcnt vmcnt(0)
	v_and_b32_e32 v18, 0xff, v2
	v_cmp_lt_i16_e32 vcc, s4, v18
	s_mov_b64 s[4:5], 0
	s_and_saveexec_b64 s[6:7], vcc
	s_xor_b64 s[6:7], exec, s[6:7]
	s_cbranch_execnz .LBB1_419
; %bb.33:
	s_or_saveexec_b64 s[6:7], s[6:7]
	v_mov_b32_e32 v17, s23
	s_xor_b64 exec, exec, s[6:7]
	s_cbranch_execnz .LBB1_422
.LBB1_34:
	s_or_b64 exec, exec, s[6:7]
	s_and_saveexec_b64 s[6:7], s[4:5]
	s_cbranch_execz .LBB1_36
.LBB1_35:
	v_and_b32_e32 v17, 7, v2
	v_ffbh_u32_e32 v20, v17
	v_min_u32_e32 v20, 32, v20
	v_lshrrev_b16_e32 v18, 3, v2
	v_subrev_u32_e32 v21, 28, v20
	v_and_b32_e32 v18, 15, v18
	v_lshlrev_b32_e32 v21, v21, v2
	v_and_b32_e32 v19, 0xffff, v18
	v_sub_u32_e32 v20, 29, v20
	v_and_b32_e32 v21, 7, v21
	v_cmp_eq_u16_e32 vcc, 0, v18
	v_cndmask_b32_e32 v17, v17, v21, vcc
	v_cndmask_b32_e32 v18, v19, v20, vcc
	v_lshlrev_b32_e32 v19, 8, v2
	v_mov_b32_e32 v20, 0x1c00
	v_lshlrev_b32_e32 v17, 7, v17
	v_and_b32_e32 v19, 0x8000, v19
	v_lshl_add_u32 v18, v18, 10, v20
	v_or3_b32 v17, v19, v18, v17
.LBB1_36:
	s_or_b64 exec, exec, s[6:7]
	v_lshrrev_b32_e32 v20, 8, v2
	s_movk_i32 s4, 0x7f
	v_cmp_gt_i16_sdwa s[6:7], v20, s4 src0_sel:BYTE_0 src1_sel:DWORD
	s_mov_b64 s[4:5], 0
                                        ; implicit-def: $sgpr23
	s_and_saveexec_b64 s[18:19], s[6:7]
	s_xor_b64 s[6:7], exec, s[18:19]
	s_cbranch_execnz .LBB1_423
; %bb.37:
	s_or_saveexec_b64 s[6:7], s[6:7]
	v_mov_b32_e32 v18, s23
	s_xor_b64 exec, exec, s[6:7]
	s_cbranch_execnz .LBB1_426
.LBB1_38:
	s_or_b64 exec, exec, s[6:7]
	s_and_saveexec_b64 s[6:7], s[4:5]
	s_cbranch_execz .LBB1_40
.LBB1_39:
	v_bfe_u32 v18, v2, 8, 3
	v_ffbh_u32_e32 v23, v18
	v_min_u32_e32 v23, 32, v23
	v_lshrrev_b16_e32 v21, 3, v20
	v_subrev_u32_e32 v24, 28, v23
	v_and_b32_e32 v21, 15, v21
	v_lshlrev_b32_e32 v24, v24, v20
	v_and_b32_e32 v22, 0xffff, v21
	v_sub_u32_e32 v23, 29, v23
	v_and_b32_e32 v24, 7, v24
	v_cmp_eq_u16_e32 vcc, 0, v21
	v_cndmask_b32_e32 v18, v18, v24, vcc
	v_cndmask_b32_e32 v21, v22, v23, vcc
	v_mov_b32_e32 v22, 0x1c00
	v_and_b32_e32 v19, 0x8000, v2
	v_lshlrev_b32_e32 v18, 7, v18
	v_lshl_add_u32 v21, v21, 10, v22
	v_or3_b32 v18, v19, v21, v18
.LBB1_40:
	s_or_b64 exec, exec, s[6:7]
	s_movk_i32 s4, 0xff
	v_and_b32_sdwa v21, v2, s4 dst_sel:DWORD dst_unused:UNUSED_PAD src0_sel:WORD_1 src1_sel:DWORD
	s_movk_i32 s4, 0x7f
	v_cmp_lt_i16_e32 vcc, s4, v21
	s_mov_b64 s[4:5], 0
                                        ; implicit-def: $sgpr23
	s_and_saveexec_b64 s[6:7], vcc
	s_xor_b64 s[6:7], exec, s[6:7]
	s_cbranch_execnz .LBB1_427
; %bb.41:
	s_or_saveexec_b64 s[6:7], s[6:7]
	v_mov_b32_e32 v19, s23
	s_xor_b64 exec, exec, s[6:7]
	s_cbranch_execnz .LBB1_430
.LBB1_42:
	s_or_b64 exec, exec, s[6:7]
	s_and_saveexec_b64 s[6:7], s[4:5]
	s_cbranch_execz .LBB1_44
.LBB1_43:
	v_bfe_u32 v19, v2, 16, 3
	v_ffbh_u32_e32 v23, v19
	v_min_u32_e32 v23, 32, v23
	v_lshrrev_b32_e32 v21, 19, v2
	v_subrev_u32_e32 v24, 28, v23
	v_and_b32_e32 v21, 15, v21
	v_lshlrev_b32_sdwa v24, v24, v2 dst_sel:DWORD dst_unused:UNUSED_PAD src0_sel:DWORD src1_sel:WORD_1
	v_bfe_u32 v22, v2, 19, 4
	v_sub_u32_e32 v23, 29, v23
	v_and_b32_e32 v24, 7, v24
	v_cmp_eq_u16_e32 vcc, 0, v21
	v_cndmask_b32_e32 v19, v19, v24, vcc
	v_cndmask_b32_e32 v21, v22, v23, vcc
	v_mov_b32_e32 v22, 0x1c00
	v_lshlrev_b32_e32 v19, 7, v19
	v_and_b32_e32 v20, 0x8000, v20
	v_lshl_add_u32 v21, v21, 10, v22
	v_or3_b32 v19, v20, v21, v19
.LBB1_44:
	s_or_b64 exec, exec, s[6:7]
	s_movk_i32 s4, 0x7f
	v_cmp_gt_i16_sdwa s[6:7], v2, s4 src0_sel:BYTE_3 src1_sel:DWORD
	s_mov_b64 s[4:5], 0
                                        ; implicit-def: $sgpr23
	s_and_saveexec_b64 s[18:19], s[6:7]
	s_xor_b64 s[6:7], exec, s[18:19]
	s_cbranch_execnz .LBB1_431
; %bb.45:
	s_or_saveexec_b64 s[6:7], s[6:7]
	v_mov_b32_e32 v20, s23
	s_xor_b64 exec, exec, s[6:7]
	s_cbranch_execnz .LBB1_434
.LBB1_46:
	s_or_b64 exec, exec, s[6:7]
	s_and_saveexec_b64 s[6:7], s[4:5]
	s_cbranch_execz .LBB1_48
.LBB1_47:
	v_bfe_u32 v20, v2, 24, 3
	v_ffbh_u32_e32 v23, v20
	v_min_u32_e32 v23, 32, v23
	v_lshrrev_b32_e32 v21, 27, v2
	v_subrev_u32_e32 v24, 28, v23
	v_and_b32_e32 v21, 15, v21
	v_lshlrev_b32_sdwa v24, v24, v2 dst_sel:DWORD dst_unused:UNUSED_PAD src0_sel:DWORD src1_sel:BYTE_3
	v_bfe_u32 v22, v2, 27, 4
	v_sub_u32_e32 v23, 29, v23
	v_and_b32_e32 v24, 7, v24
	v_cmp_eq_u16_e32 vcc, 0, v21
	v_cndmask_b32_e32 v20, v20, v24, vcc
	v_cndmask_b32_e32 v21, v22, v23, vcc
	s_mov_b32 s4, 0x8000
	v_mov_b32_e32 v22, 0x1c00
	v_lshlrev_b32_e32 v20, 7, v20
	v_and_b32_sdwa v2, v2, s4 dst_sel:DWORD dst_unused:UNUSED_PAD src0_sel:WORD_1 src1_sel:DWORD
	v_lshl_add_u32 v21, v21, 10, v22
	v_or3_b32 v20, v2, v21, v20
.LBB1_48:
	s_or_b64 exec, exec, s[6:7]
	s_movk_i32 s4, 0x7f
	v_cmp_gt_i16_sdwa s[6:7], v3, s4 src0_sel:BYTE_0 src1_sel:DWORD
	s_mov_b64 s[4:5], 0
                                        ; implicit-def: $sgpr23
	s_and_saveexec_b64 s[18:19], s[6:7]
	s_xor_b64 s[6:7], exec, s[18:19]
	s_cbranch_execnz .LBB1_435
; %bb.49:
	s_or_saveexec_b64 s[6:7], s[6:7]
	v_mov_b32_e32 v21, s23
	s_xor_b64 exec, exec, s[6:7]
	s_cbranch_execnz .LBB1_438
.LBB1_50:
	s_or_b64 exec, exec, s[6:7]
	s_and_saveexec_b64 s[6:7], s[4:5]
	s_cbranch_execz .LBB1_52
.LBB1_51:
	v_and_b32_e32 v2, 7, v3
	v_ffbh_u32_e32 v23, v2
	v_min_u32_e32 v23, 32, v23
	v_lshrrev_b16_e32 v21, 3, v3
	v_subrev_u32_e32 v24, 28, v23
	v_and_b32_e32 v21, 15, v21
	v_lshlrev_b32_e32 v24, v24, v3
	v_and_b32_e32 v22, 0xffff, v21
	v_sub_u32_e32 v23, 29, v23
	v_and_b32_e32 v24, 7, v24
	v_cmp_eq_u16_e32 vcc, 0, v21
	v_cndmask_b32_e32 v2, v2, v24, vcc
	v_cndmask_b32_e32 v21, v22, v23, vcc
	v_lshlrev_b32_e32 v22, 8, v3
	v_mov_b32_e32 v23, 0x1c00
	v_lshlrev_b32_e32 v2, 7, v2
	v_and_b32_e32 v22, 0x8000, v22
	v_lshl_add_u32 v21, v21, 10, v23
	v_or3_b32 v21, v22, v21, v2
.LBB1_52:
	s_or_b64 exec, exec, s[6:7]
	v_lshrrev_b32_e32 v2, 8, v3
	s_movk_i32 s4, 0x7f
	v_cmp_gt_i16_sdwa s[6:7], v2, s4 src0_sel:BYTE_0 src1_sel:DWORD
	s_mov_b64 s[4:5], 0
                                        ; implicit-def: $sgpr23
	s_and_saveexec_b64 s[18:19], s[6:7]
	s_xor_b64 s[6:7], exec, s[18:19]
	s_cbranch_execnz .LBB1_439
; %bb.53:
	s_or_saveexec_b64 s[6:7], s[6:7]
	v_mov_b32_e32 v22, s23
	s_xor_b64 exec, exec, s[6:7]
	s_cbranch_execnz .LBB1_442
.LBB1_54:
	s_or_b64 exec, exec, s[6:7]
	s_and_saveexec_b64 s[6:7], s[4:5]
	s_cbranch_execz .LBB1_56
.LBB1_55:
	v_bfe_u32 v22, v3, 8, 3
	v_ffbh_u32_e32 v26, v22
	v_min_u32_e32 v26, 32, v26
	v_lshrrev_b16_e32 v24, 3, v2
	v_subrev_u32_e32 v27, 28, v26
	v_and_b32_e32 v24, 15, v24
	v_lshlrev_b32_e32 v27, v27, v2
	v_and_b32_e32 v25, 0xffff, v24
	v_sub_u32_e32 v26, 29, v26
	v_and_b32_e32 v27, 7, v27
	v_cmp_eq_u16_e32 vcc, 0, v24
	v_cndmask_b32_e32 v22, v22, v27, vcc
	v_cndmask_b32_e32 v24, v25, v26, vcc
	v_mov_b32_e32 v25, 0x1c00
	v_and_b32_e32 v23, 0x8000, v3
	v_lshlrev_b32_e32 v22, 7, v22
	v_lshl_add_u32 v24, v24, 10, v25
	v_or3_b32 v22, v23, v24, v22
.LBB1_56:
	s_or_b64 exec, exec, s[6:7]
	s_movk_i32 s4, 0xff
	v_and_b32_sdwa v24, v3, s4 dst_sel:DWORD dst_unused:UNUSED_PAD src0_sel:WORD_1 src1_sel:DWORD
	s_movk_i32 s4, 0x7f
	v_cmp_lt_i16_e32 vcc, s4, v24
	s_mov_b64 s[4:5], 0
                                        ; implicit-def: $sgpr23
	s_and_saveexec_b64 s[6:7], vcc
	s_xor_b64 s[6:7], exec, s[6:7]
	s_cbranch_execnz .LBB1_443
; %bb.57:
	s_or_saveexec_b64 s[6:7], s[6:7]
	v_mov_b32_e32 v23, s23
	s_xor_b64 exec, exec, s[6:7]
	s_cbranch_execnz .LBB1_446
.LBB1_58:
	s_or_b64 exec, exec, s[6:7]
	s_and_saveexec_b64 s[6:7], s[4:5]
	s_cbranch_execz .LBB1_60
.LBB1_59:
	v_bfe_u32 v23, v3, 16, 3
	v_ffbh_u32_e32 v26, v23
	v_min_u32_e32 v26, 32, v26
	v_lshrrev_b32_e32 v24, 19, v3
	v_subrev_u32_e32 v27, 28, v26
	v_and_b32_e32 v24, 15, v24
	v_lshlrev_b32_sdwa v27, v27, v3 dst_sel:DWORD dst_unused:UNUSED_PAD src0_sel:DWORD src1_sel:WORD_1
	v_bfe_u32 v25, v3, 19, 4
	v_sub_u32_e32 v26, 29, v26
	v_and_b32_e32 v27, 7, v27
	v_cmp_eq_u16_e32 vcc, 0, v24
	v_cndmask_b32_e32 v23, v23, v27, vcc
	v_cndmask_b32_e32 v24, v25, v26, vcc
	v_mov_b32_e32 v25, 0x1c00
	v_lshlrev_b32_e32 v23, 7, v23
	v_and_b32_e32 v2, 0x8000, v2
	v_lshl_add_u32 v24, v24, 10, v25
	v_or3_b32 v23, v2, v24, v23
.LBB1_60:
	s_or_b64 exec, exec, s[6:7]
	s_movk_i32 s4, 0x7f
	v_cmp_gt_i16_sdwa s[6:7], v3, s4 src0_sel:BYTE_3 src1_sel:DWORD
	s_mov_b64 s[4:5], 0
                                        ; implicit-def: $sgpr23
	s_and_saveexec_b64 s[18:19], s[6:7]
	s_xor_b64 s[6:7], exec, s[18:19]
	s_cbranch_execnz .LBB1_447
; %bb.61:
	s_or_saveexec_b64 s[6:7], s[6:7]
	v_mov_b32_e32 v24, s23
	s_xor_b64 exec, exec, s[6:7]
	s_cbranch_execnz .LBB1_450
.LBB1_62:
	s_or_b64 exec, exec, s[6:7]
	s_and_saveexec_b64 s[6:7], s[4:5]
	s_cbranch_execz .LBB1_64
.LBB1_63:
	v_bfe_u32 v2, v3, 24, 3
	v_ffbh_u32_e32 v26, v2
	v_min_u32_e32 v26, 32, v26
	v_lshrrev_b32_e32 v24, 27, v3
	v_subrev_u32_e32 v27, 28, v26
	v_and_b32_e32 v24, 15, v24
	v_lshlrev_b32_sdwa v27, v27, v3 dst_sel:DWORD dst_unused:UNUSED_PAD src0_sel:DWORD src1_sel:BYTE_3
	v_bfe_u32 v25, v3, 27, 4
	v_sub_u32_e32 v26, 29, v26
	v_and_b32_e32 v27, 7, v27
	v_cmp_eq_u16_e32 vcc, 0, v24
	v_cndmask_b32_e32 v2, v2, v27, vcc
	v_cndmask_b32_e32 v24, v25, v26, vcc
	s_mov_b32 s4, 0x8000
	v_mov_b32_e32 v25, 0x1c00
	v_lshlrev_b32_e32 v2, 7, v2
	v_and_b32_sdwa v3, v3, s4 dst_sel:DWORD dst_unused:UNUSED_PAD src0_sel:WORD_1 src1_sel:DWORD
	v_lshl_add_u32 v24, v24, 10, v25
	v_or3_b32 v24, v3, v24, v2
.LBB1_64:
	s_or_b64 exec, exec, s[6:7]
	v_add_u32_e32 v14, s3, v14
	buffer_load_dwordx2 v[2:3], v14, s[8:11], 0 offen
	s_movk_i32 s4, 0x7f
                                        ; implicit-def: $sgpr23
	s_waitcnt vmcnt(0)
	v_and_b32_e32 v26, 0xff, v2
	v_cmp_lt_i16_e32 vcc, s4, v26
	s_mov_b64 s[4:5], 0
	s_and_saveexec_b64 s[6:7], vcc
	s_xor_b64 s[6:7], exec, s[6:7]
	s_cbranch_execnz .LBB1_451
; %bb.65:
	s_or_saveexec_b64 s[6:7], s[6:7]
	v_mov_b32_e32 v25, s23
	s_xor_b64 exec, exec, s[6:7]
	s_cbranch_execnz .LBB1_454
.LBB1_66:
	s_or_b64 exec, exec, s[6:7]
	s_and_saveexec_b64 s[6:7], s[4:5]
	s_cbranch_execz .LBB1_68
.LBB1_67:
	v_and_b32_e32 v25, 7, v2
	v_ffbh_u32_e32 v28, v25
	v_min_u32_e32 v28, 32, v28
	v_lshrrev_b16_e32 v26, 3, v2
	v_subrev_u32_e32 v29, 28, v28
	v_and_b32_e32 v26, 15, v26
	v_lshlrev_b32_e32 v29, v29, v2
	v_and_b32_e32 v27, 0xffff, v26
	v_sub_u32_e32 v28, 29, v28
	v_and_b32_e32 v29, 7, v29
	v_cmp_eq_u16_e32 vcc, 0, v26
	v_cndmask_b32_e32 v25, v25, v29, vcc
	v_cndmask_b32_e32 v26, v27, v28, vcc
	v_lshlrev_b32_e32 v27, 8, v2
	v_mov_b32_e32 v28, 0x1c00
	v_lshlrev_b32_e32 v25, 7, v25
	v_and_b32_e32 v27, 0x8000, v27
	v_lshl_add_u32 v26, v26, 10, v28
	v_or3_b32 v25, v27, v26, v25
.LBB1_68:
	s_or_b64 exec, exec, s[6:7]
	v_lshrrev_b32_e32 v28, 8, v2
	s_movk_i32 s4, 0x7f
	v_cmp_gt_i16_sdwa s[6:7], v28, s4 src0_sel:BYTE_0 src1_sel:DWORD
	s_mov_b64 s[4:5], 0
                                        ; implicit-def: $sgpr23
	s_and_saveexec_b64 s[18:19], s[6:7]
	s_xor_b64 s[6:7], exec, s[18:19]
	s_cbranch_execnz .LBB1_455
; %bb.69:
	s_or_saveexec_b64 s[6:7], s[6:7]
	v_mov_b32_e32 v26, s23
	s_xor_b64 exec, exec, s[6:7]
	s_cbranch_execnz .LBB1_458
.LBB1_70:
	s_or_b64 exec, exec, s[6:7]
	s_and_saveexec_b64 s[6:7], s[4:5]
	s_cbranch_execz .LBB1_72
.LBB1_71:
	v_bfe_u32 v26, v2, 8, 3
	v_ffbh_u32_e32 v31, v26
	v_min_u32_e32 v31, 32, v31
	v_lshrrev_b16_e32 v29, 3, v28
	v_subrev_u32_e32 v32, 28, v31
	v_and_b32_e32 v29, 15, v29
	v_lshlrev_b32_e32 v32, v32, v28
	v_and_b32_e32 v30, 0xffff, v29
	v_sub_u32_e32 v31, 29, v31
	v_and_b32_e32 v32, 7, v32
	v_cmp_eq_u16_e32 vcc, 0, v29
	v_cndmask_b32_e32 v26, v26, v32, vcc
	v_cndmask_b32_e32 v29, v30, v31, vcc
	v_mov_b32_e32 v30, 0x1c00
	v_and_b32_e32 v27, 0x8000, v2
	v_lshlrev_b32_e32 v26, 7, v26
	v_lshl_add_u32 v29, v29, 10, v30
	v_or3_b32 v26, v27, v29, v26
.LBB1_72:
	s_or_b64 exec, exec, s[6:7]
	s_movk_i32 s4, 0xff
	v_and_b32_sdwa v29, v2, s4 dst_sel:DWORD dst_unused:UNUSED_PAD src0_sel:WORD_1 src1_sel:DWORD
	s_movk_i32 s4, 0x7f
	v_cmp_lt_i16_e32 vcc, s4, v29
	s_mov_b64 s[4:5], 0
                                        ; implicit-def: $sgpr23
	s_and_saveexec_b64 s[6:7], vcc
	s_xor_b64 s[6:7], exec, s[6:7]
	s_cbranch_execnz .LBB1_459
; %bb.73:
	s_or_saveexec_b64 s[6:7], s[6:7]
	v_mov_b32_e32 v27, s23
	s_xor_b64 exec, exec, s[6:7]
	s_cbranch_execnz .LBB1_462
.LBB1_74:
	s_or_b64 exec, exec, s[6:7]
	s_and_saveexec_b64 s[6:7], s[4:5]
	s_cbranch_execz .LBB1_76
.LBB1_75:
	v_bfe_u32 v27, v2, 16, 3
	v_ffbh_u32_e32 v31, v27
	v_min_u32_e32 v31, 32, v31
	v_lshrrev_b32_e32 v29, 19, v2
	v_subrev_u32_e32 v32, 28, v31
	v_and_b32_e32 v29, 15, v29
	v_lshlrev_b32_sdwa v32, v32, v2 dst_sel:DWORD dst_unused:UNUSED_PAD src0_sel:DWORD src1_sel:WORD_1
	v_bfe_u32 v30, v2, 19, 4
	v_sub_u32_e32 v31, 29, v31
	v_and_b32_e32 v32, 7, v32
	v_cmp_eq_u16_e32 vcc, 0, v29
	v_cndmask_b32_e32 v27, v27, v32, vcc
	v_cndmask_b32_e32 v29, v30, v31, vcc
	v_mov_b32_e32 v30, 0x1c00
	v_lshlrev_b32_e32 v27, 7, v27
	v_and_b32_e32 v28, 0x8000, v28
	v_lshl_add_u32 v29, v29, 10, v30
	v_or3_b32 v27, v28, v29, v27
.LBB1_76:
	s_or_b64 exec, exec, s[6:7]
	s_movk_i32 s4, 0x7f
	v_cmp_gt_i16_sdwa s[6:7], v2, s4 src0_sel:BYTE_3 src1_sel:DWORD
	s_mov_b64 s[4:5], 0
                                        ; implicit-def: $sgpr23
	s_and_saveexec_b64 s[18:19], s[6:7]
	s_xor_b64 s[6:7], exec, s[18:19]
	s_cbranch_execnz .LBB1_463
; %bb.77:
	s_or_saveexec_b64 s[6:7], s[6:7]
	v_mov_b32_e32 v28, s23
	s_xor_b64 exec, exec, s[6:7]
	s_cbranch_execnz .LBB1_466
.LBB1_78:
	s_or_b64 exec, exec, s[6:7]
	s_and_saveexec_b64 s[6:7], s[4:5]
	s_cbranch_execz .LBB1_80
.LBB1_79:
	v_bfe_u32 v28, v2, 24, 3
	v_ffbh_u32_e32 v31, v28
	v_min_u32_e32 v31, 32, v31
	v_lshrrev_b32_e32 v29, 27, v2
	v_subrev_u32_e32 v32, 28, v31
	v_and_b32_e32 v29, 15, v29
	v_lshlrev_b32_sdwa v32, v32, v2 dst_sel:DWORD dst_unused:UNUSED_PAD src0_sel:DWORD src1_sel:BYTE_3
	v_bfe_u32 v30, v2, 27, 4
	v_sub_u32_e32 v31, 29, v31
	v_and_b32_e32 v32, 7, v32
	v_cmp_eq_u16_e32 vcc, 0, v29
	v_cndmask_b32_e32 v28, v28, v32, vcc
	v_cndmask_b32_e32 v29, v30, v31, vcc
	s_mov_b32 s4, 0x8000
	v_mov_b32_e32 v30, 0x1c00
	v_lshlrev_b32_e32 v28, 7, v28
	v_and_b32_sdwa v2, v2, s4 dst_sel:DWORD dst_unused:UNUSED_PAD src0_sel:WORD_1 src1_sel:DWORD
	v_lshl_add_u32 v29, v29, 10, v30
	v_or3_b32 v28, v2, v29, v28
.LBB1_80:
	s_or_b64 exec, exec, s[6:7]
	s_movk_i32 s4, 0x7f
	v_cmp_gt_i16_sdwa s[6:7], v3, s4 src0_sel:BYTE_0 src1_sel:DWORD
	s_mov_b64 s[4:5], 0
                                        ; implicit-def: $sgpr23
	s_and_saveexec_b64 s[18:19], s[6:7]
	s_xor_b64 s[6:7], exec, s[18:19]
	s_cbranch_execnz .LBB1_467
; %bb.81:
	s_or_saveexec_b64 s[6:7], s[6:7]
	v_mov_b32_e32 v29, s23
	s_xor_b64 exec, exec, s[6:7]
	s_cbranch_execnz .LBB1_470
.LBB1_82:
	s_or_b64 exec, exec, s[6:7]
	s_and_saveexec_b64 s[6:7], s[4:5]
	s_cbranch_execz .LBB1_84
.LBB1_83:
	v_and_b32_e32 v2, 7, v3
	v_ffbh_u32_e32 v31, v2
	v_min_u32_e32 v31, 32, v31
	v_lshrrev_b16_e32 v29, 3, v3
	v_subrev_u32_e32 v32, 28, v31
	v_and_b32_e32 v29, 15, v29
	v_lshlrev_b32_e32 v32, v32, v3
	v_and_b32_e32 v30, 0xffff, v29
	v_sub_u32_e32 v31, 29, v31
	v_and_b32_e32 v32, 7, v32
	v_cmp_eq_u16_e32 vcc, 0, v29
	v_cndmask_b32_e32 v2, v2, v32, vcc
	v_cndmask_b32_e32 v29, v30, v31, vcc
	v_lshlrev_b32_e32 v30, 8, v3
	v_mov_b32_e32 v31, 0x1c00
	v_lshlrev_b32_e32 v2, 7, v2
	v_and_b32_e32 v30, 0x8000, v30
	v_lshl_add_u32 v29, v29, 10, v31
	v_or3_b32 v29, v30, v29, v2
.LBB1_84:
	s_or_b64 exec, exec, s[6:7]
	v_lshrrev_b32_e32 v2, 8, v3
	s_movk_i32 s4, 0x7f
	v_cmp_gt_i16_sdwa s[6:7], v2, s4 src0_sel:BYTE_0 src1_sel:DWORD
	s_mov_b64 s[4:5], 0
                                        ; implicit-def: $sgpr23
	s_and_saveexec_b64 s[18:19], s[6:7]
	s_xor_b64 s[6:7], exec, s[18:19]
	s_cbranch_execnz .LBB1_471
; %bb.85:
	s_or_saveexec_b64 s[6:7], s[6:7]
	v_mov_b32_e32 v30, s23
	s_xor_b64 exec, exec, s[6:7]
	s_cbranch_execnz .LBB1_474
.LBB1_86:
	s_or_b64 exec, exec, s[6:7]
	s_and_saveexec_b64 s[6:7], s[4:5]
	s_cbranch_execz .LBB1_88
.LBB1_87:
	v_bfe_u32 v30, v3, 8, 3
	v_ffbh_u32_e32 v34, v30
	v_min_u32_e32 v34, 32, v34
	v_lshrrev_b16_e32 v32, 3, v2
	v_subrev_u32_e32 v35, 28, v34
	v_and_b32_e32 v32, 15, v32
	v_lshlrev_b32_e32 v35, v35, v2
	v_and_b32_e32 v33, 0xffff, v32
	v_sub_u32_e32 v34, 29, v34
	v_and_b32_e32 v35, 7, v35
	v_cmp_eq_u16_e32 vcc, 0, v32
	v_cndmask_b32_e32 v30, v30, v35, vcc
	v_cndmask_b32_e32 v32, v33, v34, vcc
	v_mov_b32_e32 v33, 0x1c00
	v_and_b32_e32 v31, 0x8000, v3
	v_lshlrev_b32_e32 v30, 7, v30
	v_lshl_add_u32 v32, v32, 10, v33
	v_or3_b32 v30, v31, v32, v30
.LBB1_88:
	s_or_b64 exec, exec, s[6:7]
	s_movk_i32 s4, 0xff
	v_and_b32_sdwa v32, v3, s4 dst_sel:DWORD dst_unused:UNUSED_PAD src0_sel:WORD_1 src1_sel:DWORD
	s_movk_i32 s4, 0x7f
	v_cmp_lt_i16_e32 vcc, s4, v32
	s_mov_b64 s[4:5], 0
                                        ; implicit-def: $sgpr23
	s_and_saveexec_b64 s[6:7], vcc
	s_xor_b64 s[6:7], exec, s[6:7]
	s_cbranch_execnz .LBB1_475
; %bb.89:
	s_or_saveexec_b64 s[6:7], s[6:7]
	v_mov_b32_e32 v31, s23
	s_xor_b64 exec, exec, s[6:7]
	s_cbranch_execnz .LBB1_478
.LBB1_90:
	s_or_b64 exec, exec, s[6:7]
	s_and_saveexec_b64 s[6:7], s[4:5]
	s_cbranch_execz .LBB1_92
.LBB1_91:
	v_bfe_u32 v31, v3, 16, 3
	v_ffbh_u32_e32 v34, v31
	v_min_u32_e32 v34, 32, v34
	v_lshrrev_b32_e32 v32, 19, v3
	v_subrev_u32_e32 v35, 28, v34
	v_and_b32_e32 v32, 15, v32
	v_lshlrev_b32_sdwa v35, v35, v3 dst_sel:DWORD dst_unused:UNUSED_PAD src0_sel:DWORD src1_sel:WORD_1
	v_bfe_u32 v33, v3, 19, 4
	v_sub_u32_e32 v34, 29, v34
	v_and_b32_e32 v35, 7, v35
	v_cmp_eq_u16_e32 vcc, 0, v32
	v_cndmask_b32_e32 v31, v31, v35, vcc
	v_cndmask_b32_e32 v32, v33, v34, vcc
	v_mov_b32_e32 v33, 0x1c00
	v_lshlrev_b32_e32 v31, 7, v31
	v_and_b32_e32 v2, 0x8000, v2
	v_lshl_add_u32 v32, v32, 10, v33
	v_or3_b32 v31, v2, v32, v31
.LBB1_92:
	s_or_b64 exec, exec, s[6:7]
	s_movk_i32 s4, 0x7f
	v_cmp_gt_i16_sdwa s[6:7], v3, s4 src0_sel:BYTE_3 src1_sel:DWORD
	s_mov_b64 s[4:5], 0
                                        ; implicit-def: $sgpr23
	s_and_saveexec_b64 s[18:19], s[6:7]
	s_xor_b64 s[6:7], exec, s[18:19]
	s_cbranch_execnz .LBB1_479
; %bb.93:
	s_or_saveexec_b64 s[6:7], s[6:7]
	v_mov_b32_e32 v32, s23
	s_xor_b64 exec, exec, s[6:7]
	s_cbranch_execnz .LBB1_482
.LBB1_94:
	s_or_b64 exec, exec, s[6:7]
	s_and_saveexec_b64 s[6:7], s[4:5]
	s_cbranch_execz .LBB1_96
.LBB1_95:
	v_bfe_u32 v2, v3, 24, 3
	v_ffbh_u32_e32 v34, v2
	v_min_u32_e32 v34, 32, v34
	v_lshrrev_b32_e32 v32, 27, v3
	v_subrev_u32_e32 v35, 28, v34
	v_and_b32_e32 v32, 15, v32
	v_lshlrev_b32_sdwa v35, v35, v3 dst_sel:DWORD dst_unused:UNUSED_PAD src0_sel:DWORD src1_sel:BYTE_3
	v_bfe_u32 v33, v3, 27, 4
	v_sub_u32_e32 v34, 29, v34
	v_and_b32_e32 v35, 7, v35
	v_cmp_eq_u16_e32 vcc, 0, v32
	v_cndmask_b32_e32 v2, v2, v35, vcc
	v_cndmask_b32_e32 v32, v33, v34, vcc
	s_mov_b32 s4, 0x8000
	v_mov_b32_e32 v33, 0x1c00
	v_lshlrev_b32_e32 v2, 7, v2
	v_and_b32_sdwa v3, v3, s4 dst_sel:DWORD dst_unused:UNUSED_PAD src0_sel:WORD_1 src1_sel:DWORD
	v_lshl_add_u32 v32, v32, 10, v33
	v_or3_b32 v32, v3, v32, v2
.LBB1_96:
	s_or_b64 exec, exec, s[6:7]
	v_add_u32_e32 v2, s3, v14
	buffer_load_dwordx2 v[2:3], v2, s[8:11], 0 offen
	s_movk_i32 s4, 0x7f
                                        ; implicit-def: $sgpr23
	s_waitcnt vmcnt(0)
	v_and_b32_e32 v14, 0xff, v2
	v_cmp_lt_i16_e32 vcc, s4, v14
	s_mov_b64 s[4:5], 0
	s_and_saveexec_b64 s[6:7], vcc
	s_xor_b64 s[6:7], exec, s[6:7]
	s_cbranch_execnz .LBB1_483
; %bb.97:
	s_or_saveexec_b64 s[6:7], s[6:7]
	v_mov_b32_e32 v33, s23
	s_xor_b64 exec, exec, s[6:7]
	s_cbranch_execnz .LBB1_486
.LBB1_98:
	s_or_b64 exec, exec, s[6:7]
	s_and_saveexec_b64 s[6:7], s[4:5]
	s_cbranch_execz .LBB1_100
.LBB1_99:
	v_and_b32_e32 v14, 7, v2
	v_ffbh_u32_e32 v35, v14
	v_min_u32_e32 v35, 32, v35
	v_lshrrev_b16_e32 v33, 3, v2
	v_subrev_u32_e32 v36, 28, v35
	v_and_b32_e32 v33, 15, v33
	v_lshlrev_b32_e32 v36, v36, v2
	v_and_b32_e32 v34, 0xffff, v33
	v_sub_u32_e32 v35, 29, v35
	v_and_b32_e32 v36, 7, v36
	v_cmp_eq_u16_e32 vcc, 0, v33
	v_cndmask_b32_e32 v14, v14, v36, vcc
	v_cndmask_b32_e32 v33, v34, v35, vcc
	v_lshlrev_b32_e32 v34, 8, v2
	v_mov_b32_e32 v35, 0x1c00
	v_lshlrev_b32_e32 v14, 7, v14
	v_and_b32_e32 v34, 0x8000, v34
	v_lshl_add_u32 v33, v33, 10, v35
	v_or3_b32 v33, v34, v33, v14
.LBB1_100:
	s_or_b64 exec, exec, s[6:7]
	v_lshrrev_b32_e32 v14, 8, v2
	s_movk_i32 s4, 0x7f
	v_cmp_gt_i16_sdwa s[6:7], v14, s4 src0_sel:BYTE_0 src1_sel:DWORD
	s_mov_b64 s[4:5], 0
                                        ; implicit-def: $sgpr23
	s_and_saveexec_b64 s[18:19], s[6:7]
	s_xor_b64 s[6:7], exec, s[18:19]
	s_cbranch_execnz .LBB1_487
; %bb.101:
	s_or_saveexec_b64 s[6:7], s[6:7]
	v_mov_b32_e32 v34, s23
	s_xor_b64 exec, exec, s[6:7]
	s_cbranch_execnz .LBB1_490
.LBB1_102:
	s_or_b64 exec, exec, s[6:7]
	s_and_saveexec_b64 s[6:7], s[4:5]
	s_cbranch_execz .LBB1_104
.LBB1_103:
	v_bfe_u32 v34, v2, 8, 3
	v_ffbh_u32_e32 v38, v34
	v_min_u32_e32 v38, 32, v38
	v_lshrrev_b16_e32 v36, 3, v14
	v_subrev_u32_e32 v39, 28, v38
	v_and_b32_e32 v36, 15, v36
	v_lshlrev_b32_e32 v39, v39, v14
	v_and_b32_e32 v37, 0xffff, v36
	v_sub_u32_e32 v38, 29, v38
	v_and_b32_e32 v39, 7, v39
	v_cmp_eq_u16_e32 vcc, 0, v36
	v_cndmask_b32_e32 v34, v34, v39, vcc
	v_cndmask_b32_e32 v36, v37, v38, vcc
	v_mov_b32_e32 v37, 0x1c00
	v_and_b32_e32 v35, 0x8000, v2
	v_lshlrev_b32_e32 v34, 7, v34
	v_lshl_add_u32 v36, v36, 10, v37
	v_or3_b32 v34, v35, v36, v34
.LBB1_104:
	s_or_b64 exec, exec, s[6:7]
	s_movk_i32 s4, 0xff
	v_and_b32_sdwa v36, v2, s4 dst_sel:DWORD dst_unused:UNUSED_PAD src0_sel:WORD_1 src1_sel:DWORD
	s_movk_i32 s4, 0x7f
	v_cmp_lt_i16_e32 vcc, s4, v36
	s_mov_b64 s[4:5], 0
                                        ; implicit-def: $sgpr23
	s_and_saveexec_b64 s[6:7], vcc
	s_xor_b64 s[6:7], exec, s[6:7]
	s_cbranch_execnz .LBB1_491
; %bb.105:
	s_or_saveexec_b64 s[6:7], s[6:7]
	v_mov_b32_e32 v35, s23
	s_xor_b64 exec, exec, s[6:7]
	s_cbranch_execnz .LBB1_494
.LBB1_106:
	s_or_b64 exec, exec, s[6:7]
	s_and_saveexec_b64 s[6:7], s[4:5]
	s_cbranch_execz .LBB1_108
.LBB1_107:
	v_bfe_u32 v35, v2, 16, 3
	v_ffbh_u32_e32 v38, v35
	v_min_u32_e32 v38, 32, v38
	v_lshrrev_b32_e32 v36, 19, v2
	v_subrev_u32_e32 v39, 28, v38
	v_and_b32_e32 v36, 15, v36
	v_lshlrev_b32_sdwa v39, v39, v2 dst_sel:DWORD dst_unused:UNUSED_PAD src0_sel:DWORD src1_sel:WORD_1
	v_bfe_u32 v37, v2, 19, 4
	v_sub_u32_e32 v38, 29, v38
	v_and_b32_e32 v39, 7, v39
	v_cmp_eq_u16_e32 vcc, 0, v36
	v_cndmask_b32_e32 v35, v35, v39, vcc
	v_cndmask_b32_e32 v36, v37, v38, vcc
	v_mov_b32_e32 v37, 0x1c00
	v_lshlrev_b32_e32 v35, 7, v35
	v_and_b32_e32 v14, 0x8000, v14
	v_lshl_add_u32 v36, v36, 10, v37
	v_or3_b32 v35, v14, v36, v35
.LBB1_108:
	s_or_b64 exec, exec, s[6:7]
	s_movk_i32 s4, 0x7f
	v_cmp_gt_i16_sdwa s[6:7], v2, s4 src0_sel:BYTE_3 src1_sel:DWORD
	s_mov_b64 s[4:5], 0
                                        ; implicit-def: $sgpr23
	s_and_saveexec_b64 s[18:19], s[6:7]
	s_xor_b64 s[6:7], exec, s[18:19]
	s_cbranch_execnz .LBB1_495
; %bb.109:
	s_or_saveexec_b64 s[6:7], s[6:7]
	v_mov_b32_e32 v36, s23
	s_xor_b64 exec, exec, s[6:7]
	s_cbranch_execnz .LBB1_498
.LBB1_110:
	s_or_b64 exec, exec, s[6:7]
	s_and_saveexec_b64 s[6:7], s[4:5]
	s_cbranch_execz .LBB1_112
.LBB1_111:
	v_bfe_u32 v14, v2, 24, 3
	v_ffbh_u32_e32 v38, v14
	v_min_u32_e32 v38, 32, v38
	v_lshrrev_b32_e32 v36, 27, v2
	v_subrev_u32_e32 v39, 28, v38
	v_and_b32_e32 v36, 15, v36
	v_lshlrev_b32_sdwa v39, v39, v2 dst_sel:DWORD dst_unused:UNUSED_PAD src0_sel:DWORD src1_sel:BYTE_3
	v_bfe_u32 v37, v2, 27, 4
	v_sub_u32_e32 v38, 29, v38
	v_and_b32_e32 v39, 7, v39
	v_cmp_eq_u16_e32 vcc, 0, v36
	v_cndmask_b32_e32 v14, v14, v39, vcc
	v_cndmask_b32_e32 v36, v37, v38, vcc
	s_mov_b32 s4, 0x8000
	v_mov_b32_e32 v37, 0x1c00
	v_lshlrev_b32_e32 v14, 7, v14
	v_and_b32_sdwa v2, v2, s4 dst_sel:DWORD dst_unused:UNUSED_PAD src0_sel:WORD_1 src1_sel:DWORD
	v_lshl_add_u32 v36, v36, 10, v37
	v_or3_b32 v36, v2, v36, v14
.LBB1_112:
	s_or_b64 exec, exec, s[6:7]
	s_movk_i32 s4, 0x7f
	v_cmp_gt_i16_sdwa s[6:7], v3, s4 src0_sel:BYTE_0 src1_sel:DWORD
	s_mov_b64 s[4:5], 0
                                        ; implicit-def: $sgpr23
	s_and_saveexec_b64 s[18:19], s[6:7]
	s_xor_b64 s[6:7], exec, s[18:19]
	s_cbranch_execnz .LBB1_499
; %bb.113:
	s_or_saveexec_b64 s[6:7], s[6:7]
	v_mov_b32_e32 v2, s23
	s_xor_b64 exec, exec, s[6:7]
	s_cbranch_execnz .LBB1_502
.LBB1_114:
	s_or_b64 exec, exec, s[6:7]
	s_and_saveexec_b64 s[6:7], s[4:5]
	s_cbranch_execz .LBB1_116
.LBB1_115:
	v_and_b32_e32 v2, 7, v3
	v_ffbh_u32_e32 v38, v2
	v_min_u32_e32 v38, 32, v38
	v_lshrrev_b16_e32 v14, 3, v3
	v_subrev_u32_e32 v39, 28, v38
	v_and_b32_e32 v14, 15, v14
	v_lshlrev_b32_e32 v39, v39, v3
	v_and_b32_e32 v37, 0xffff, v14
	v_sub_u32_e32 v38, 29, v38
	v_and_b32_e32 v39, 7, v39
	v_cmp_eq_u16_e32 vcc, 0, v14
	v_cndmask_b32_e32 v2, v2, v39, vcc
	v_cndmask_b32_e32 v14, v37, v38, vcc
	v_lshlrev_b32_e32 v37, 8, v3
	v_mov_b32_e32 v38, 0x1c00
	v_lshlrev_b32_e32 v2, 7, v2
	v_and_b32_e32 v37, 0x8000, v37
	v_lshl_add_u32 v14, v14, 10, v38
	v_or3_b32 v2, v37, v14, v2
.LBB1_116:
	s_or_b64 exec, exec, s[6:7]
	v_lshrrev_b32_e32 v14, 8, v3
	s_movk_i32 s4, 0x7f
	v_cmp_gt_i16_sdwa s[6:7], v14, s4 src0_sel:BYTE_0 src1_sel:DWORD
	s_mov_b64 s[4:5], 0
                                        ; implicit-def: $sgpr23
	s_and_saveexec_b64 s[18:19], s[6:7]
	s_xor_b64 s[6:7], exec, s[18:19]
	s_cbranch_execnz .LBB1_503
; %bb.117:
	s_or_saveexec_b64 s[6:7], s[6:7]
	v_mov_b32_e32 v37, s23
	s_xor_b64 exec, exec, s[6:7]
	s_cbranch_execnz .LBB1_506
.LBB1_118:
	s_or_b64 exec, exec, s[6:7]
	s_and_saveexec_b64 s[6:7], s[4:5]
	s_cbranch_execz .LBB1_120
.LBB1_119:
	v_bfe_u32 v37, v3, 8, 3
	v_ffbh_u32_e32 v41, v37
	v_min_u32_e32 v41, 32, v41
	v_lshrrev_b16_e32 v39, 3, v14
	v_subrev_u32_e32 v42, 28, v41
	v_and_b32_e32 v39, 15, v39
	v_lshlrev_b32_e32 v42, v42, v14
	v_and_b32_e32 v40, 0xffff, v39
	v_sub_u32_e32 v41, 29, v41
	v_and_b32_e32 v42, 7, v42
	v_cmp_eq_u16_e32 vcc, 0, v39
	v_cndmask_b32_e32 v37, v37, v42, vcc
	v_cndmask_b32_e32 v39, v40, v41, vcc
	v_mov_b32_e32 v40, 0x1c00
	v_and_b32_e32 v38, 0x8000, v3
	v_lshlrev_b32_e32 v37, 7, v37
	v_lshl_add_u32 v39, v39, 10, v40
	v_or3_b32 v37, v38, v39, v37
.LBB1_120:
	s_or_b64 exec, exec, s[6:7]
	s_movk_i32 s4, 0xff
	v_and_b32_sdwa v39, v3, s4 dst_sel:DWORD dst_unused:UNUSED_PAD src0_sel:WORD_1 src1_sel:DWORD
	s_movk_i32 s4, 0x7f
	v_cmp_lt_i16_e32 vcc, s4, v39
	s_mov_b64 s[4:5], 0
                                        ; implicit-def: $sgpr23
	s_and_saveexec_b64 s[6:7], vcc
	s_xor_b64 s[6:7], exec, s[6:7]
	s_cbranch_execnz .LBB1_507
; %bb.121:
	s_or_saveexec_b64 s[6:7], s[6:7]
	v_mov_b32_e32 v38, s23
	s_xor_b64 exec, exec, s[6:7]
	s_cbranch_execnz .LBB1_510
.LBB1_122:
	s_or_b64 exec, exec, s[6:7]
	s_and_saveexec_b64 s[6:7], s[4:5]
	s_cbranch_execz .LBB1_124
.LBB1_123:
	v_bfe_u32 v38, v3, 16, 3
	v_ffbh_u32_e32 v41, v38
	v_min_u32_e32 v41, 32, v41
	v_lshrrev_b32_e32 v39, 19, v3
	v_subrev_u32_e32 v42, 28, v41
	v_and_b32_e32 v39, 15, v39
	v_lshlrev_b32_sdwa v42, v42, v3 dst_sel:DWORD dst_unused:UNUSED_PAD src0_sel:DWORD src1_sel:WORD_1
	v_bfe_u32 v40, v3, 19, 4
	v_sub_u32_e32 v41, 29, v41
	v_and_b32_e32 v42, 7, v42
	v_cmp_eq_u16_e32 vcc, 0, v39
	v_cndmask_b32_e32 v38, v38, v42, vcc
	v_cndmask_b32_e32 v39, v40, v41, vcc
	v_mov_b32_e32 v40, 0x1c00
	v_lshlrev_b32_e32 v38, 7, v38
	v_and_b32_e32 v14, 0x8000, v14
	v_lshl_add_u32 v39, v39, 10, v40
	v_or3_b32 v38, v14, v39, v38
.LBB1_124:
	s_or_b64 exec, exec, s[6:7]
	s_movk_i32 s4, 0x7f
	v_cmp_gt_i16_sdwa s[6:7], v3, s4 src0_sel:BYTE_3 src1_sel:DWORD
	s_mov_b64 s[4:5], 0
                                        ; implicit-def: $sgpr23
	s_and_saveexec_b64 s[18:19], s[6:7]
	s_xor_b64 s[6:7], exec, s[18:19]
	s_cbranch_execnz .LBB1_511
; %bb.125:
	s_or_saveexec_b64 s[6:7], s[6:7]
	v_mov_b32_e32 v39, s23
	s_xor_b64 exec, exec, s[6:7]
	s_cbranch_execnz .LBB1_514
.LBB1_126:
	s_or_b64 exec, exec, s[6:7]
	s_and_saveexec_b64 s[6:7], s[4:5]
	s_cbranch_execz .LBB1_128
.LBB1_127:
	v_bfe_u32 v14, v3, 24, 3
	v_ffbh_u32_e32 v41, v14
	v_min_u32_e32 v41, 32, v41
	v_lshrrev_b32_e32 v39, 27, v3
	v_subrev_u32_e32 v42, 28, v41
	v_and_b32_e32 v39, 15, v39
	v_lshlrev_b32_sdwa v42, v42, v3 dst_sel:DWORD dst_unused:UNUSED_PAD src0_sel:DWORD src1_sel:BYTE_3
	v_bfe_u32 v40, v3, 27, 4
	v_sub_u32_e32 v41, 29, v41
	v_and_b32_e32 v42, 7, v42
	v_cmp_eq_u16_e32 vcc, 0, v39
	v_cndmask_b32_e32 v14, v14, v42, vcc
	v_cndmask_b32_e32 v39, v40, v41, vcc
	s_mov_b32 s4, 0x8000
	v_mov_b32_e32 v40, 0x1c00
	v_lshlrev_b32_e32 v14, 7, v14
	v_and_b32_sdwa v3, v3, s4 dst_sel:DWORD dst_unused:UNUSED_PAD src0_sel:WORD_1 src1_sel:DWORD
	v_lshl_add_u32 v39, v39, 10, v40
	v_or3_b32 v39, v3, v39, v14
.LBB1_128:
	s_or_b64 exec, exec, s[6:7]
	v_lshrrev_b32_e32 v3, 1, v0
	s_add_u32 s4, 0, 0
	v_and_b32_e32 v3, 0x7e, v3
	s_addc_u32 s4, s1, 0x7fffffff
	v_add_u32_e32 v14, s22, v3
	s_mul_i32 s4, s4, s16
	v_mul_lo_u32 v52, v14, s16
	v_add_u32_e32 v14, v52, v1
	s_add_i32 s2, s2, s4
	s_lshl_b32 s6, s2, 1
	s_mov_b32 s7, 0x20000
	s_mov_b32 s4, s14
	;; [unrolled: 1-line block ×3, first 2 shown]
	v_lshlrev_b32_e32 v53, 1, v14
	v_add_lshl_u32 v14, v14, s16, 1
	buffer_load_dwordx4 v[40:43], v53, s[4:7], 0 offen
	buffer_load_dwordx4 v[44:47], v14, s[4:7], 0 offen
	v_and_b32_e32 v48, 63, v0
	v_and_b32_e32 v49, 48, v0
	s_mov_b32 s24, 0x5040100
	s_movk_i32 s2, 0x1010
	v_lshlrev_b32_e32 v57, 4, v7
	v_lshlrev_b32_e32 v170, 2, v0
	v_add_u32_e32 v59, 3, v6
	v_add_u32_e32 v60, 2, v6
	v_add3_u32 v139, v5, s3, 32
	v_add_u32_e32 v140, 32, v5
	v_sub_u32_e32 v5, v48, v49
	v_perm_b32 v51, v16, v15, s24
	v_perm_b32 v50, v13, v12, s24
	v_perm_b32 v49, v11, v10, s24
	v_perm_b32 v48, v9, v8, s24
	v_perm_b32 v7, v20, v19, s24
	v_perm_b32 v20, v37, v2, s24
	v_mad_u32_u24 v2, v4, s2, v57
	v_bfe_u32 v54, v0, 4, 2
	v_and_b32_e32 v55, 0x80, v0
	s_movk_i32 s18, 0x810
	v_mul_u32_u24_e32 v58, 0x810, v4
	v_perm_b32 v9, v24, v23, s24
	v_perm_b32 v8, v22, v21, s24
	;; [unrolled: 1-line block ×10, first 2 shown]
	v_and_b32_e32 v23, 0x100, v170
	v_mad_u64_u32 v[134:135], s[14:15], s3, v59, 32
	v_mad_u64_u32 v[136:137], s[2:3], s3, v60, 32
	ds_write_b128 v2, v[48:51]
	ds_write_b128 v2, v[6:9] offset:16
	ds_write_b128 v2, v[10:13] offset:32
	ds_write_b128 v2, v[18:21] offset:48
	v_lshlrev_b32_e32 v2, 4, v3
	v_lshlrev_b32_e32 v3, 4, v5
	v_mul_u32_u24_e32 v56, 0x1010, v4
	v_mov_b32_e32 v141, 0
	s_add_i32 s28, s28, -1
	v_mul_u32_u24_e32 v22, 0x1010, v54
	v_mul_u32_u24_e32 v24, 0x810, v54
	v_mad_u32_u24 v4, v4, s18, v2
	v_lshl_add_u32 v5, v55, 1, v3
	v_add_u32_e32 v3, v3, v23
	v_add_u32_e32 v137, v2, v58
	v_add3_u32 v2, v52, s16, v1
	s_movk_i32 s23, 0x80
	s_movk_i32 s25, 0xff
	;; [unrolled: 1-line block ×3, first 2 shown]
	s_mov_b32 s27, 0x8000
	v_mov_b32_e32 v143, 0x1c00
	v_mov_b32_e32 v14, 0
	v_add_u32_e32 v135, v56, v57
	v_mov_b32_e32 v15, v141
	v_mov_b32_e32 v16, v141
	;; [unrolled: 1-line block ×3, first 2 shown]
	s_max_i32 s28, s28, 1
	v_add_u32_e32 v142, v5, v22
	v_add_u32_e32 v138, v3, v24
	v_lshl_add_u32 v144, v2, 1, 64
	v_add_u32_e32 v145, 64, v53
	v_mov_b32_e32 v2, 0
	v_mov_b32_e32 v3, v141
	v_mov_b32_e32 v5, v141
	v_mov_b32_e32 v6, 0
	v_mov_b32_e32 v7, v141
	s_waitcnt vmcnt(1)
	ds_write_b128 v4, v[40:43] offset:16432
	s_waitcnt vmcnt(0)
	ds_write_b128 v4, v[44:47] offset:16448
	v_mov_b32_e32 v4, v141
	v_mov_b32_e32 v8, v141
	;; [unrolled: 1-line block ×119, first 2 shown]
	s_branch .LBB1_130
.LBB1_129:                              ;   in Loop: Header=BB1_130 Depth=1
	s_or_b64 exec, exec, s[14:15]
	s_waitcnt lgkmcnt(0)
	s_barrier
	ds_read_b128 v[180:183], v142
	ds_read_b128 v[184:187], v138 offset:16432
	ds_read_b128 v[188:191], v138 offset:16944
	;; [unrolled: 1-line block ×5, first 2 shown]
	s_waitcnt lgkmcnt(4)
	v_mfma_f32_16x16x16f16 v[126:129], v[180:181], v[184:185], v[126:129]
	s_add_i32 s28, s28, -1
	v_perm_b32 v153, v153, v152, s24
	v_perm_b32 v152, v151, v150, s24
	;; [unrolled: 1-line block ×4, first 2 shown]
	v_add_u32_e32 v134, 32, v134
	v_add_u32_e32 v136, 32, v136
	s_waitcnt lgkmcnt(3)
	v_mfma_f32_16x16x16f16 v[122:125], v[180:181], v[188:189], v[122:125]
	v_add_u32_e32 v139, 32, v139
	v_add_u32_e32 v140, 32, v140
	s_cmp_lg_u32 s28, 0
	v_perm_b32 v149, v161, v160, s24
	v_perm_b32 v148, v159, v158, s24
	;; [unrolled: 1-line block ×4, first 2 shown]
	s_waitcnt lgkmcnt(1)
	v_mfma_f32_16x16x16f16 v[118:121], v[180:181], v[196:197], v[118:121]
	v_perm_b32 v157, v169, v168, s24
	v_perm_b32 v156, v167, v166, s24
	;; [unrolled: 1-line block ×7, first 2 shown]
	s_waitcnt lgkmcnt(0)
	v_mfma_f32_16x16x16f16 v[114:117], v[180:181], v[130:131], v[114:117]
	v_perm_b32 v158, v172, v171, s24
	v_mfma_f32_16x16x16f16 v[110:113], v[192:193], v[184:185], v[110:113]
	v_mfma_f32_16x16x16f16 v[106:109], v[192:193], v[188:189], v[106:109]
	v_mfma_f32_16x16x16f16 v[98:101], v[192:193], v[196:197], v[98:101]
	v_mfma_f32_16x16x16f16 v[102:105], v[192:193], v[130:131], v[102:105]
	v_mfma_f32_16x16x16f16 v[126:129], v[182:183], v[186:187], v[126:129]
	v_mfma_f32_16x16x16f16 v[122:125], v[182:183], v[190:191], v[122:125]
	v_mfma_f32_16x16x16f16 v[118:121], v[182:183], v[198:199], v[118:121]
	v_mfma_f32_16x16x16f16 v[114:117], v[182:183], v[132:133], v[114:117]
	v_mfma_f32_16x16x16f16 v[110:113], v[194:195], v[186:187], v[110:113]
	v_mfma_f32_16x16x16f16 v[106:109], v[194:195], v[190:191], v[106:109]
	v_mfma_f32_16x16x16f16 v[98:101], v[194:195], v[198:199], v[98:101]
	v_mfma_f32_16x16x16f16 v[102:105], v[194:195], v[132:133], v[102:105]
	ds_read_b128 v[180:183], v142 offset:1024
	ds_read_b128 v[192:195], v142 offset:1536
	s_waitcnt lgkmcnt(1)
	v_mfma_f32_16x16x16f16 v[94:97], v[180:181], v[184:185], v[94:97]
	v_mfma_f32_16x16x16f16 v[90:93], v[180:181], v[188:189], v[90:93]
	v_mfma_f32_16x16x16f16 v[86:89], v[180:181], v[196:197], v[86:89]
	v_mfma_f32_16x16x16f16 v[82:85], v[180:181], v[130:131], v[82:85]
	s_waitcnt lgkmcnt(0)
	v_mfma_f32_16x16x16f16 v[78:81], v[192:193], v[184:185], v[78:81]
	v_mfma_f32_16x16x16f16 v[74:77], v[192:193], v[188:189], v[74:77]
	v_mfma_f32_16x16x16f16 v[70:73], v[192:193], v[196:197], v[70:73]
	v_mfma_f32_16x16x16f16 v[66:69], v[192:193], v[130:131], v[66:69]
	v_mfma_f32_16x16x16f16 v[94:97], v[182:183], v[186:187], v[94:97]
	v_mfma_f32_16x16x16f16 v[90:93], v[182:183], v[190:191], v[90:93]
	v_mfma_f32_16x16x16f16 v[86:89], v[182:183], v[198:199], v[86:89]
	v_mfma_f32_16x16x16f16 v[82:85], v[182:183], v[132:133], v[82:85]
	v_mfma_f32_16x16x16f16 v[78:81], v[194:195], v[186:187], v[78:81]
	v_mfma_f32_16x16x16f16 v[74:77], v[194:195], v[190:191], v[74:77]
	v_mfma_f32_16x16x16f16 v[70:73], v[194:195], v[198:199], v[70:73]
	v_mfma_f32_16x16x16f16 v[66:69], v[194:195], v[132:133], v[66:69]
	ds_read_b128 v[180:183], v142 offset:2048
	ds_read_b128 v[192:195], v142 offset:2560
	s_waitcnt lgkmcnt(1)
	v_mfma_f32_16x16x16f16 v[62:65], v[180:181], v[184:185], v[62:65]
	v_mfma_f32_16x16x16f16 v[58:61], v[180:181], v[188:189], v[58:61]
	v_mfma_f32_16x16x16f16 v[54:57], v[180:181], v[196:197], v[54:57]
	v_mfma_f32_16x16x16f16 v[50:53], v[180:181], v[130:131], v[50:53]
	s_waitcnt lgkmcnt(0)
	;; [unrolled: 20-line block ×3, first 2 shown]
	v_mfma_f32_16x16x16f16 v[10:13], v[192:193], v[184:185], v[10:13]
	v_mfma_f32_16x16x16f16 v[30:33], v[182:183], v[186:187], v[30:33]
	v_mfma_f32_16x16x16f16 v[26:29], v[182:183], v[190:191], v[26:29]
	v_mfma_f32_16x16x16f16 v[22:25], v[182:183], v[198:199], v[22:25]
	v_mfma_f32_16x16x16f16 v[18:21], v[182:183], v[132:133], v[18:21]
	v_mfma_f32_16x16x16f16 v[10:13], v[194:195], v[186:187], v[10:13]
	buffer_load_dwordx4 v[180:183], v145, s[4:7], 0 offen
	buffer_load_dwordx4 v[184:187], v144, s[4:7], 0 offen
	v_add_u32_e32 v144, 64, v144
	v_add_u32_e32 v145, 64, v145
	s_waitcnt lgkmcnt(0)
	s_barrier
	ds_write_b128 v135, v[150:153]
	ds_write_b128 v135, v[146:149] offset:16
	ds_write_b128 v135, v[154:157] offset:32
	;; [unrolled: 1-line block ×3, first 2 shown]
	s_waitcnt vmcnt(1)
	ds_write_b128 v137, v[180:183] offset:16432
	s_waitcnt vmcnt(0)
	ds_write_b128 v137, v[184:187] offset:16448
	v_mfma_f32_16x16x16f16 v[6:9], v[192:193], v[188:189], v[6:9]
	v_mfma_f32_16x16x16f16 v[2:5], v[192:193], v[196:197], v[2:5]
	;; [unrolled: 1-line block ×6, first 2 shown]
	s_cbranch_scc0 .LBB1_386
.LBB1_130:                              ; =>This Inner Loop Header: Depth=1
	v_add_u32_e32 v130, v1, v140
	buffer_load_dwordx2 v[130:131], v130, s[8:11], 0 offen
	s_mov_b64 s[2:3], 0
                                        ; implicit-def: $sgpr16
	s_waitcnt vmcnt(0)
	v_and_b32_e32 v132, 0xff, v130
	v_cmp_lt_i16_e32 vcc, s26, v132
	s_and_saveexec_b64 s[14:15], vcc
	s_xor_b64 s[14:15], exec, s[14:15]
	s_cbranch_execnz .LBB1_257
; %bb.131:                              ;   in Loop: Header=BB1_130 Depth=1
	s_or_saveexec_b64 s[14:15], s[14:15]
	v_mov_b32_e32 v146, s16
	s_xor_b64 exec, exec, s[14:15]
	s_cbranch_execnz .LBB1_260
.LBB1_132:                              ;   in Loop: Header=BB1_130 Depth=1
	s_or_b64 exec, exec, s[14:15]
	s_and_saveexec_b64 s[14:15], s[2:3]
	s_cbranch_execz .LBB1_134
.LBB1_133:                              ;   in Loop: Header=BB1_130 Depth=1
	v_and_b32_e32 v132, 7, v130
	v_ffbh_u32_e32 v147, v132
	v_min_u32_e32 v147, 32, v147
	v_lshrrev_b16_e32 v133, 3, v130
	v_subrev_u32_e32 v148, 28, v147
	v_and_b32_e32 v133, 15, v133
	v_lshlrev_b32_e32 v148, v148, v130
	v_and_b32_e32 v146, 0xffff, v133
	v_sub_u32_e32 v147, 29, v147
	v_and_b32_e32 v148, 7, v148
	v_cmp_eq_u16_e32 vcc, 0, v133
	v_cndmask_b32_e32 v132, v132, v148, vcc
	v_cndmask_b32_e32 v133, v146, v147, vcc
	v_lshlrev_b32_e32 v146, 8, v130
	v_lshlrev_b32_e32 v132, 7, v132
	v_and_b32_e32 v146, 0x8000, v146
	v_lshl_add_u32 v133, v133, 10, v143
	v_or3_b32 v146, v146, v133, v132
.LBB1_134:                              ;   in Loop: Header=BB1_130 Depth=1
	s_or_b64 exec, exec, s[14:15]
	v_lshrrev_b32_e32 v132, 8, v130
	v_cmp_gt_i16_sdwa s[14:15], v132, s26 src0_sel:BYTE_0 src1_sel:DWORD
	s_mov_b64 s[2:3], 0
                                        ; implicit-def: $sgpr16
	s_and_saveexec_b64 s[18:19], s[14:15]
	s_xor_b64 s[14:15], exec, s[18:19]
	s_cbranch_execnz .LBB1_261
; %bb.135:                              ;   in Loop: Header=BB1_130 Depth=1
	s_or_saveexec_b64 s[14:15], s[14:15]
	v_mov_b32_e32 v147, s16
	s_xor_b64 exec, exec, s[14:15]
	s_cbranch_execnz .LBB1_264
.LBB1_136:                              ;   in Loop: Header=BB1_130 Depth=1
	s_or_b64 exec, exec, s[14:15]
	s_and_saveexec_b64 s[14:15], s[2:3]
	s_cbranch_execz .LBB1_138
.LBB1_137:                              ;   in Loop: Header=BB1_130 Depth=1
	v_bfe_u32 v133, v130, 8, 3
	v_ffbh_u32_e32 v150, v133
	v_min_u32_e32 v150, 32, v150
	v_lshrrev_b16_e32 v148, 3, v132
	v_subrev_u32_e32 v151, 28, v150
	v_and_b32_e32 v148, 15, v148
	v_lshlrev_b32_e32 v151, v151, v132
	v_and_b32_e32 v149, 0xffff, v148
	v_sub_u32_e32 v150, 29, v150
	v_and_b32_e32 v151, 7, v151
	v_cmp_eq_u16_e32 vcc, 0, v148
	v_cndmask_b32_e32 v133, v133, v151, vcc
	v_cndmask_b32_e32 v148, v149, v150, vcc
	v_and_b32_e32 v147, 0x8000, v130
	v_lshlrev_b32_e32 v133, 7, v133
	v_lshl_add_u32 v148, v148, 10, v143
	v_or3_b32 v147, v147, v148, v133
.LBB1_138:                              ;   in Loop: Header=BB1_130 Depth=1
	s_or_b64 exec, exec, s[14:15]
	v_and_b32_sdwa v133, v130, s25 dst_sel:DWORD dst_unused:UNUSED_PAD src0_sel:WORD_1 src1_sel:DWORD
	v_cmp_lt_i16_e32 vcc, s26, v133
	s_mov_b64 s[2:3], 0
                                        ; implicit-def: $sgpr16
	s_and_saveexec_b64 s[14:15], vcc
	s_xor_b64 s[14:15], exec, s[14:15]
	s_cbranch_execnz .LBB1_265
; %bb.139:                              ;   in Loop: Header=BB1_130 Depth=1
	s_or_saveexec_b64 s[14:15], s[14:15]
	v_mov_b32_e32 v148, s16
	s_xor_b64 exec, exec, s[14:15]
	s_cbranch_execnz .LBB1_268
.LBB1_140:                              ;   in Loop: Header=BB1_130 Depth=1
	s_or_b64 exec, exec, s[14:15]
	s_and_saveexec_b64 s[14:15], s[2:3]
	s_cbranch_execz .LBB1_142
.LBB1_141:                              ;   in Loop: Header=BB1_130 Depth=1
	v_bfe_u32 v133, v130, 16, 3
	v_ffbh_u32_e32 v150, v133
	v_min_u32_e32 v150, 32, v150
	v_lshrrev_b32_e32 v148, 19, v130
	v_subrev_u32_e32 v151, 28, v150
	v_and_b32_e32 v148, 15, v148
	v_lshlrev_b32_sdwa v151, v151, v130 dst_sel:DWORD dst_unused:UNUSED_PAD src0_sel:DWORD src1_sel:WORD_1
	v_bfe_u32 v149, v130, 19, 4
	v_sub_u32_e32 v150, 29, v150
	v_and_b32_e32 v151, 7, v151
	v_cmp_eq_u16_e32 vcc, 0, v148
	v_cndmask_b32_e32 v133, v133, v151, vcc
	v_cndmask_b32_e32 v148, v149, v150, vcc
	v_lshlrev_b32_e32 v133, 7, v133
	v_and_b32_e32 v132, 0x8000, v132
	v_lshl_add_u32 v148, v148, 10, v143
	v_or3_b32 v148, v132, v148, v133
.LBB1_142:                              ;   in Loop: Header=BB1_130 Depth=1
	s_or_b64 exec, exec, s[14:15]
	v_cmp_gt_i16_sdwa s[14:15], v130, s26 src0_sel:BYTE_3 src1_sel:DWORD
	s_mov_b64 s[2:3], 0
                                        ; implicit-def: $sgpr16
	s_and_saveexec_b64 s[18:19], s[14:15]
	s_xor_b64 s[14:15], exec, s[18:19]
	s_cbranch_execnz .LBB1_269
; %bb.143:                              ;   in Loop: Header=BB1_130 Depth=1
	s_or_saveexec_b64 s[14:15], s[14:15]
	v_mov_b32_e32 v149, s16
	s_xor_b64 exec, exec, s[14:15]
	s_cbranch_execnz .LBB1_272
.LBB1_144:                              ;   in Loop: Header=BB1_130 Depth=1
	s_or_b64 exec, exec, s[14:15]
	s_and_saveexec_b64 s[14:15], s[2:3]
	s_cbranch_execz .LBB1_146
.LBB1_145:                              ;   in Loop: Header=BB1_130 Depth=1
	v_bfe_u32 v132, v130, 24, 3
	v_ffbh_u32_e32 v150, v132
	v_min_u32_e32 v150, 32, v150
	v_lshrrev_b32_e32 v133, 27, v130
	v_subrev_u32_e32 v151, 28, v150
	v_and_b32_e32 v133, 15, v133
	v_lshlrev_b32_sdwa v151, v151, v130 dst_sel:DWORD dst_unused:UNUSED_PAD src0_sel:DWORD src1_sel:BYTE_3
	v_bfe_u32 v149, v130, 27, 4
	v_sub_u32_e32 v150, 29, v150
	v_and_b32_e32 v151, 7, v151
	v_cmp_eq_u16_e32 vcc, 0, v133
	v_cndmask_b32_e32 v132, v132, v151, vcc
	v_cndmask_b32_e32 v133, v149, v150, vcc
	v_lshlrev_b32_e32 v132, 7, v132
	v_and_b32_sdwa v130, v130, s27 dst_sel:DWORD dst_unused:UNUSED_PAD src0_sel:WORD_1 src1_sel:DWORD
	v_lshl_add_u32 v133, v133, 10, v143
	v_or3_b32 v149, v130, v133, v132
.LBB1_146:                              ;   in Loop: Header=BB1_130 Depth=1
	s_or_b64 exec, exec, s[14:15]
	v_cmp_gt_i16_sdwa s[14:15], v131, s26 src0_sel:BYTE_0 src1_sel:DWORD
	s_mov_b64 s[2:3], 0
                                        ; implicit-def: $sgpr16
	s_and_saveexec_b64 s[18:19], s[14:15]
	s_xor_b64 s[14:15], exec, s[18:19]
	s_cbranch_execnz .LBB1_273
; %bb.147:                              ;   in Loop: Header=BB1_130 Depth=1
	s_or_saveexec_b64 s[14:15], s[14:15]
	v_mov_b32_e32 v150, s16
	s_xor_b64 exec, exec, s[14:15]
	s_cbranch_execnz .LBB1_276
.LBB1_148:                              ;   in Loop: Header=BB1_130 Depth=1
	s_or_b64 exec, exec, s[14:15]
	s_and_saveexec_b64 s[14:15], s[2:3]
	s_cbranch_execz .LBB1_150
.LBB1_149:                              ;   in Loop: Header=BB1_130 Depth=1
	v_and_b32_e32 v130, 7, v131
	v_ffbh_u32_e32 v150, v130
	v_min_u32_e32 v150, 32, v150
	v_lshrrev_b16_e32 v132, 3, v131
	v_subrev_u32_e32 v151, 28, v150
	v_and_b32_e32 v132, 15, v132
	v_lshlrev_b32_e32 v151, v151, v131
	v_and_b32_e32 v133, 0xffff, v132
	v_sub_u32_e32 v150, 29, v150
	v_and_b32_e32 v151, 7, v151
	v_cmp_eq_u16_e32 vcc, 0, v132
	v_cndmask_b32_e32 v130, v130, v151, vcc
	v_cndmask_b32_e32 v132, v133, v150, vcc
	v_lshlrev_b32_e32 v133, 8, v131
	v_lshlrev_b32_e32 v130, 7, v130
	v_and_b32_e32 v133, 0x8000, v133
	v_lshl_add_u32 v132, v132, 10, v143
	v_or3_b32 v150, v133, v132, v130
.LBB1_150:                              ;   in Loop: Header=BB1_130 Depth=1
	s_or_b64 exec, exec, s[14:15]
	v_lshrrev_b32_e32 v130, 8, v131
	v_cmp_gt_i16_sdwa s[14:15], v130, s26 src0_sel:BYTE_0 src1_sel:DWORD
	s_mov_b64 s[2:3], 0
                                        ; implicit-def: $sgpr16
	s_and_saveexec_b64 s[18:19], s[14:15]
	s_xor_b64 s[14:15], exec, s[18:19]
	s_cbranch_execnz .LBB1_277
; %bb.151:                              ;   in Loop: Header=BB1_130 Depth=1
	s_or_saveexec_b64 s[14:15], s[14:15]
	v_mov_b32_e32 v151, s16
	s_xor_b64 exec, exec, s[14:15]
	s_cbranch_execnz .LBB1_280
.LBB1_152:                              ;   in Loop: Header=BB1_130 Depth=1
	s_or_b64 exec, exec, s[14:15]
	s_and_saveexec_b64 s[14:15], s[2:3]
	s_cbranch_execz .LBB1_154
.LBB1_153:                              ;   in Loop: Header=BB1_130 Depth=1
	v_bfe_u32 v132, v131, 8, 3
	v_ffbh_u32_e32 v153, v132
	v_min_u32_e32 v153, 32, v153
	v_lshrrev_b16_e32 v151, 3, v130
	v_subrev_u32_e32 v154, 28, v153
	v_and_b32_e32 v151, 15, v151
	v_lshlrev_b32_e32 v154, v154, v130
	v_and_b32_e32 v152, 0xffff, v151
	v_sub_u32_e32 v153, 29, v153
	v_and_b32_e32 v154, 7, v154
	v_cmp_eq_u16_e32 vcc, 0, v151
	v_cndmask_b32_e32 v132, v132, v154, vcc
	v_cndmask_b32_e32 v151, v152, v153, vcc
	v_and_b32_e32 v133, 0x8000, v131
	v_lshlrev_b32_e32 v132, 7, v132
	v_lshl_add_u32 v151, v151, 10, v143
	v_or3_b32 v151, v133, v151, v132
.LBB1_154:                              ;   in Loop: Header=BB1_130 Depth=1
	s_or_b64 exec, exec, s[14:15]
	v_and_b32_sdwa v132, v131, s25 dst_sel:DWORD dst_unused:UNUSED_PAD src0_sel:WORD_1 src1_sel:DWORD
	v_cmp_lt_i16_e32 vcc, s26, v132
	s_mov_b64 s[2:3], 0
                                        ; implicit-def: $sgpr16
	s_and_saveexec_b64 s[14:15], vcc
	s_xor_b64 s[14:15], exec, s[14:15]
	s_cbranch_execnz .LBB1_281
; %bb.155:                              ;   in Loop: Header=BB1_130 Depth=1
	s_or_saveexec_b64 s[14:15], s[14:15]
	v_mov_b32_e32 v152, s16
	s_xor_b64 exec, exec, s[14:15]
	s_cbranch_execnz .LBB1_284
.LBB1_156:                              ;   in Loop: Header=BB1_130 Depth=1
	s_or_b64 exec, exec, s[14:15]
	s_and_saveexec_b64 s[14:15], s[2:3]
	s_cbranch_execz .LBB1_158
.LBB1_157:                              ;   in Loop: Header=BB1_130 Depth=1
	v_bfe_u32 v132, v131, 16, 3
	v_ffbh_u32_e32 v153, v132
	v_min_u32_e32 v153, 32, v153
	v_lshrrev_b32_e32 v133, 19, v131
	v_subrev_u32_e32 v154, 28, v153
	v_and_b32_e32 v133, 15, v133
	v_lshlrev_b32_sdwa v154, v154, v131 dst_sel:DWORD dst_unused:UNUSED_PAD src0_sel:DWORD src1_sel:WORD_1
	v_bfe_u32 v152, v131, 19, 4
	v_sub_u32_e32 v153, 29, v153
	v_and_b32_e32 v154, 7, v154
	v_cmp_eq_u16_e32 vcc, 0, v133
	v_cndmask_b32_e32 v132, v132, v154, vcc
	v_cndmask_b32_e32 v133, v152, v153, vcc
	v_lshlrev_b32_e32 v132, 7, v132
	v_and_b32_e32 v130, 0x8000, v130
	v_lshl_add_u32 v133, v133, 10, v143
	v_or3_b32 v152, v130, v133, v132
.LBB1_158:                              ;   in Loop: Header=BB1_130 Depth=1
	s_or_b64 exec, exec, s[14:15]
	v_cmp_gt_i16_sdwa s[14:15], v131, s26 src0_sel:BYTE_3 src1_sel:DWORD
	s_mov_b64 s[2:3], 0
                                        ; implicit-def: $sgpr16
	s_and_saveexec_b64 s[18:19], s[14:15]
	s_xor_b64 s[14:15], exec, s[18:19]
	s_cbranch_execnz .LBB1_285
; %bb.159:                              ;   in Loop: Header=BB1_130 Depth=1
	s_or_saveexec_b64 s[14:15], s[14:15]
	v_mov_b32_e32 v153, s16
	s_xor_b64 exec, exec, s[14:15]
	s_cbranch_execnz .LBB1_288
.LBB1_160:                              ;   in Loop: Header=BB1_130 Depth=1
	s_or_b64 exec, exec, s[14:15]
	s_and_saveexec_b64 s[14:15], s[2:3]
	s_cbranch_execz .LBB1_162
.LBB1_161:                              ;   in Loop: Header=BB1_130 Depth=1
	v_bfe_u32 v130, v131, 24, 3
	v_ffbh_u32_e32 v153, v130
	v_min_u32_e32 v153, 32, v153
	v_lshrrev_b32_e32 v132, 27, v131
	v_subrev_u32_e32 v154, 28, v153
	v_and_b32_e32 v132, 15, v132
	v_lshlrev_b32_sdwa v154, v154, v131 dst_sel:DWORD dst_unused:UNUSED_PAD src0_sel:DWORD src1_sel:BYTE_3
	v_bfe_u32 v133, v131, 27, 4
	v_sub_u32_e32 v153, 29, v153
	v_and_b32_e32 v154, 7, v154
	v_cmp_eq_u16_e32 vcc, 0, v132
	v_cndmask_b32_e32 v130, v130, v154, vcc
	v_cndmask_b32_e32 v132, v133, v153, vcc
	v_lshlrev_b32_e32 v130, 7, v130
	v_and_b32_sdwa v131, v131, s27 dst_sel:DWORD dst_unused:UNUSED_PAD src0_sel:WORD_1 src1_sel:DWORD
	v_lshl_add_u32 v132, v132, 10, v143
	v_or3_b32 v153, v131, v132, v130
.LBB1_162:                              ;   in Loop: Header=BB1_130 Depth=1
	s_or_b64 exec, exec, s[14:15]
	v_add_u32_e32 v130, v1, v139
	buffer_load_dwordx2 v[130:131], v130, s[8:11], 0 offen
	s_mov_b64 s[2:3], 0
                                        ; implicit-def: $sgpr16
	s_waitcnt vmcnt(0)
	v_and_b32_e32 v132, 0xff, v130
	v_cmp_lt_i16_e32 vcc, s26, v132
	s_and_saveexec_b64 s[14:15], vcc
	s_xor_b64 s[14:15], exec, s[14:15]
	s_cbranch_execnz .LBB1_289
; %bb.163:                              ;   in Loop: Header=BB1_130 Depth=1
	s_or_saveexec_b64 s[14:15], s[14:15]
	v_mov_b32_e32 v154, s16
	s_xor_b64 exec, exec, s[14:15]
	s_cbranch_execnz .LBB1_292
.LBB1_164:                              ;   in Loop: Header=BB1_130 Depth=1
	s_or_b64 exec, exec, s[14:15]
	s_and_saveexec_b64 s[14:15], s[2:3]
	s_cbranch_execz .LBB1_166
.LBB1_165:                              ;   in Loop: Header=BB1_130 Depth=1
	v_and_b32_e32 v132, 7, v130
	v_ffbh_u32_e32 v155, v132
	v_min_u32_e32 v155, 32, v155
	v_lshrrev_b16_e32 v133, 3, v130
	v_subrev_u32_e32 v156, 28, v155
	v_and_b32_e32 v133, 15, v133
	v_lshlrev_b32_e32 v156, v156, v130
	v_and_b32_e32 v154, 0xffff, v133
	v_sub_u32_e32 v155, 29, v155
	v_and_b32_e32 v156, 7, v156
	v_cmp_eq_u16_e32 vcc, 0, v133
	v_cndmask_b32_e32 v132, v132, v156, vcc
	v_cndmask_b32_e32 v133, v154, v155, vcc
	v_lshlrev_b32_e32 v154, 8, v130
	v_lshlrev_b32_e32 v132, 7, v132
	v_and_b32_e32 v154, 0x8000, v154
	v_lshl_add_u32 v133, v133, 10, v143
	v_or3_b32 v154, v154, v133, v132
.LBB1_166:                              ;   in Loop: Header=BB1_130 Depth=1
	s_or_b64 exec, exec, s[14:15]
	v_lshrrev_b32_e32 v132, 8, v130
	v_cmp_gt_i16_sdwa s[14:15], v132, s26 src0_sel:BYTE_0 src1_sel:DWORD
	s_mov_b64 s[2:3], 0
                                        ; implicit-def: $sgpr16
	s_and_saveexec_b64 s[18:19], s[14:15]
	s_xor_b64 s[14:15], exec, s[18:19]
	s_cbranch_execnz .LBB1_293
; %bb.167:                              ;   in Loop: Header=BB1_130 Depth=1
	s_or_saveexec_b64 s[14:15], s[14:15]
	v_mov_b32_e32 v155, s16
	s_xor_b64 exec, exec, s[14:15]
	s_cbranch_execnz .LBB1_296
.LBB1_168:                              ;   in Loop: Header=BB1_130 Depth=1
	s_or_b64 exec, exec, s[14:15]
	s_and_saveexec_b64 s[14:15], s[2:3]
	s_cbranch_execz .LBB1_170
.LBB1_169:                              ;   in Loop: Header=BB1_130 Depth=1
	v_bfe_u32 v133, v130, 8, 3
	v_ffbh_u32_e32 v158, v133
	v_min_u32_e32 v158, 32, v158
	v_lshrrev_b16_e32 v156, 3, v132
	v_subrev_u32_e32 v159, 28, v158
	v_and_b32_e32 v156, 15, v156
	v_lshlrev_b32_e32 v159, v159, v132
	v_and_b32_e32 v157, 0xffff, v156
	v_sub_u32_e32 v158, 29, v158
	v_and_b32_e32 v159, 7, v159
	v_cmp_eq_u16_e32 vcc, 0, v156
	v_cndmask_b32_e32 v133, v133, v159, vcc
	v_cndmask_b32_e32 v156, v157, v158, vcc
	v_and_b32_e32 v155, 0x8000, v130
	v_lshlrev_b32_e32 v133, 7, v133
	v_lshl_add_u32 v156, v156, 10, v143
	v_or3_b32 v155, v155, v156, v133
.LBB1_170:                              ;   in Loop: Header=BB1_130 Depth=1
	s_or_b64 exec, exec, s[14:15]
	v_and_b32_sdwa v133, v130, s25 dst_sel:DWORD dst_unused:UNUSED_PAD src0_sel:WORD_1 src1_sel:DWORD
	v_cmp_lt_i16_e32 vcc, s26, v133
	s_mov_b64 s[2:3], 0
                                        ; implicit-def: $sgpr16
	s_and_saveexec_b64 s[14:15], vcc
	s_xor_b64 s[14:15], exec, s[14:15]
	s_cbranch_execnz .LBB1_297
; %bb.171:                              ;   in Loop: Header=BB1_130 Depth=1
	s_or_saveexec_b64 s[14:15], s[14:15]
	v_mov_b32_e32 v156, s16
	s_xor_b64 exec, exec, s[14:15]
	s_cbranch_execnz .LBB1_300
.LBB1_172:                              ;   in Loop: Header=BB1_130 Depth=1
	s_or_b64 exec, exec, s[14:15]
	s_and_saveexec_b64 s[14:15], s[2:3]
	s_cbranch_execz .LBB1_174
.LBB1_173:                              ;   in Loop: Header=BB1_130 Depth=1
	v_bfe_u32 v133, v130, 16, 3
	v_ffbh_u32_e32 v158, v133
	v_min_u32_e32 v158, 32, v158
	v_lshrrev_b32_e32 v156, 19, v130
	v_subrev_u32_e32 v159, 28, v158
	v_and_b32_e32 v156, 15, v156
	v_lshlrev_b32_sdwa v159, v159, v130 dst_sel:DWORD dst_unused:UNUSED_PAD src0_sel:DWORD src1_sel:WORD_1
	v_bfe_u32 v157, v130, 19, 4
	v_sub_u32_e32 v158, 29, v158
	v_and_b32_e32 v159, 7, v159
	v_cmp_eq_u16_e32 vcc, 0, v156
	v_cndmask_b32_e32 v133, v133, v159, vcc
	v_cndmask_b32_e32 v156, v157, v158, vcc
	v_lshlrev_b32_e32 v133, 7, v133
	v_and_b32_e32 v132, 0x8000, v132
	v_lshl_add_u32 v156, v156, 10, v143
	v_or3_b32 v156, v132, v156, v133
.LBB1_174:                              ;   in Loop: Header=BB1_130 Depth=1
	s_or_b64 exec, exec, s[14:15]
	v_cmp_gt_i16_sdwa s[14:15], v130, s26 src0_sel:BYTE_3 src1_sel:DWORD
	s_mov_b64 s[2:3], 0
                                        ; implicit-def: $sgpr16
	s_and_saveexec_b64 s[18:19], s[14:15]
	s_xor_b64 s[14:15], exec, s[18:19]
	s_cbranch_execnz .LBB1_301
; %bb.175:                              ;   in Loop: Header=BB1_130 Depth=1
	s_or_saveexec_b64 s[14:15], s[14:15]
	v_mov_b32_e32 v157, s16
	s_xor_b64 exec, exec, s[14:15]
	s_cbranch_execnz .LBB1_304
.LBB1_176:                              ;   in Loop: Header=BB1_130 Depth=1
	s_or_b64 exec, exec, s[14:15]
	s_and_saveexec_b64 s[14:15], s[2:3]
	s_cbranch_execz .LBB1_178
.LBB1_177:                              ;   in Loop: Header=BB1_130 Depth=1
	v_bfe_u32 v132, v130, 24, 3
	v_ffbh_u32_e32 v158, v132
	v_min_u32_e32 v158, 32, v158
	v_lshrrev_b32_e32 v133, 27, v130
	v_subrev_u32_e32 v159, 28, v158
	v_and_b32_e32 v133, 15, v133
	v_lshlrev_b32_sdwa v159, v159, v130 dst_sel:DWORD dst_unused:UNUSED_PAD src0_sel:DWORD src1_sel:BYTE_3
	v_bfe_u32 v157, v130, 27, 4
	v_sub_u32_e32 v158, 29, v158
	v_and_b32_e32 v159, 7, v159
	v_cmp_eq_u16_e32 vcc, 0, v133
	v_cndmask_b32_e32 v132, v132, v159, vcc
	v_cndmask_b32_e32 v133, v157, v158, vcc
	v_lshlrev_b32_e32 v132, 7, v132
	v_and_b32_sdwa v130, v130, s27 dst_sel:DWORD dst_unused:UNUSED_PAD src0_sel:WORD_1 src1_sel:DWORD
	v_lshl_add_u32 v133, v133, 10, v143
	v_or3_b32 v157, v130, v133, v132
.LBB1_178:                              ;   in Loop: Header=BB1_130 Depth=1
	s_or_b64 exec, exec, s[14:15]
	v_cmp_gt_i16_sdwa s[14:15], v131, s26 src0_sel:BYTE_0 src1_sel:DWORD
	s_mov_b64 s[2:3], 0
                                        ; implicit-def: $sgpr16
	s_and_saveexec_b64 s[18:19], s[14:15]
	s_xor_b64 s[14:15], exec, s[18:19]
	s_cbranch_execnz .LBB1_305
; %bb.179:                              ;   in Loop: Header=BB1_130 Depth=1
	s_or_saveexec_b64 s[14:15], s[14:15]
	v_mov_b32_e32 v158, s16
	s_xor_b64 exec, exec, s[14:15]
	s_cbranch_execnz .LBB1_308
.LBB1_180:                              ;   in Loop: Header=BB1_130 Depth=1
	s_or_b64 exec, exec, s[14:15]
	s_and_saveexec_b64 s[14:15], s[2:3]
	s_cbranch_execz .LBB1_182
.LBB1_181:                              ;   in Loop: Header=BB1_130 Depth=1
	v_and_b32_e32 v130, 7, v131
	v_ffbh_u32_e32 v158, v130
	v_min_u32_e32 v158, 32, v158
	v_lshrrev_b16_e32 v132, 3, v131
	v_subrev_u32_e32 v159, 28, v158
	v_and_b32_e32 v132, 15, v132
	v_lshlrev_b32_e32 v159, v159, v131
	v_and_b32_e32 v133, 0xffff, v132
	v_sub_u32_e32 v158, 29, v158
	v_and_b32_e32 v159, 7, v159
	v_cmp_eq_u16_e32 vcc, 0, v132
	v_cndmask_b32_e32 v130, v130, v159, vcc
	v_cndmask_b32_e32 v132, v133, v158, vcc
	v_lshlrev_b32_e32 v133, 8, v131
	v_lshlrev_b32_e32 v130, 7, v130
	v_and_b32_e32 v133, 0x8000, v133
	v_lshl_add_u32 v132, v132, 10, v143
	v_or3_b32 v158, v133, v132, v130
.LBB1_182:                              ;   in Loop: Header=BB1_130 Depth=1
	s_or_b64 exec, exec, s[14:15]
	v_lshrrev_b32_e32 v130, 8, v131
	v_cmp_gt_i16_sdwa s[14:15], v130, s26 src0_sel:BYTE_0 src1_sel:DWORD
	s_mov_b64 s[2:3], 0
                                        ; implicit-def: $sgpr16
	s_and_saveexec_b64 s[18:19], s[14:15]
	s_xor_b64 s[14:15], exec, s[18:19]
	s_cbranch_execnz .LBB1_309
; %bb.183:                              ;   in Loop: Header=BB1_130 Depth=1
	s_or_saveexec_b64 s[14:15], s[14:15]
	v_mov_b32_e32 v159, s16
	s_xor_b64 exec, exec, s[14:15]
	s_cbranch_execnz .LBB1_312
.LBB1_184:                              ;   in Loop: Header=BB1_130 Depth=1
	s_or_b64 exec, exec, s[14:15]
	s_and_saveexec_b64 s[14:15], s[2:3]
	s_cbranch_execz .LBB1_186
.LBB1_185:                              ;   in Loop: Header=BB1_130 Depth=1
	v_bfe_u32 v132, v131, 8, 3
	v_ffbh_u32_e32 v161, v132
	v_min_u32_e32 v161, 32, v161
	v_lshrrev_b16_e32 v159, 3, v130
	v_subrev_u32_e32 v162, 28, v161
	v_and_b32_e32 v159, 15, v159
	v_lshlrev_b32_e32 v162, v162, v130
	v_and_b32_e32 v160, 0xffff, v159
	v_sub_u32_e32 v161, 29, v161
	v_and_b32_e32 v162, 7, v162
	v_cmp_eq_u16_e32 vcc, 0, v159
	v_cndmask_b32_e32 v132, v132, v162, vcc
	v_cndmask_b32_e32 v159, v160, v161, vcc
	v_and_b32_e32 v133, 0x8000, v131
	v_lshlrev_b32_e32 v132, 7, v132
	v_lshl_add_u32 v159, v159, 10, v143
	v_or3_b32 v159, v133, v159, v132
.LBB1_186:                              ;   in Loop: Header=BB1_130 Depth=1
	s_or_b64 exec, exec, s[14:15]
	v_and_b32_sdwa v132, v131, s25 dst_sel:DWORD dst_unused:UNUSED_PAD src0_sel:WORD_1 src1_sel:DWORD
	v_cmp_lt_i16_e32 vcc, s26, v132
	s_mov_b64 s[2:3], 0
                                        ; implicit-def: $sgpr16
	s_and_saveexec_b64 s[14:15], vcc
	s_xor_b64 s[14:15], exec, s[14:15]
	s_cbranch_execnz .LBB1_313
; %bb.187:                              ;   in Loop: Header=BB1_130 Depth=1
	s_or_saveexec_b64 s[14:15], s[14:15]
	v_mov_b32_e32 v160, s16
	s_xor_b64 exec, exec, s[14:15]
	s_cbranch_execnz .LBB1_316
.LBB1_188:                              ;   in Loop: Header=BB1_130 Depth=1
	s_or_b64 exec, exec, s[14:15]
	s_and_saveexec_b64 s[14:15], s[2:3]
	s_cbranch_execz .LBB1_190
.LBB1_189:                              ;   in Loop: Header=BB1_130 Depth=1
	v_bfe_u32 v132, v131, 16, 3
	v_ffbh_u32_e32 v161, v132
	v_min_u32_e32 v161, 32, v161
	v_lshrrev_b32_e32 v133, 19, v131
	v_subrev_u32_e32 v162, 28, v161
	v_and_b32_e32 v133, 15, v133
	v_lshlrev_b32_sdwa v162, v162, v131 dst_sel:DWORD dst_unused:UNUSED_PAD src0_sel:DWORD src1_sel:WORD_1
	v_bfe_u32 v160, v131, 19, 4
	v_sub_u32_e32 v161, 29, v161
	v_and_b32_e32 v162, 7, v162
	v_cmp_eq_u16_e32 vcc, 0, v133
	v_cndmask_b32_e32 v132, v132, v162, vcc
	v_cndmask_b32_e32 v133, v160, v161, vcc
	v_lshlrev_b32_e32 v132, 7, v132
	v_and_b32_e32 v130, 0x8000, v130
	v_lshl_add_u32 v133, v133, 10, v143
	v_or3_b32 v160, v130, v133, v132
.LBB1_190:                              ;   in Loop: Header=BB1_130 Depth=1
	s_or_b64 exec, exec, s[14:15]
	v_cmp_gt_i16_sdwa s[14:15], v131, s26 src0_sel:BYTE_3 src1_sel:DWORD
	s_mov_b64 s[2:3], 0
                                        ; implicit-def: $sgpr16
	s_and_saveexec_b64 s[18:19], s[14:15]
	s_xor_b64 s[14:15], exec, s[18:19]
	s_cbranch_execnz .LBB1_317
; %bb.191:                              ;   in Loop: Header=BB1_130 Depth=1
	s_or_saveexec_b64 s[14:15], s[14:15]
	v_mov_b32_e32 v161, s16
	s_xor_b64 exec, exec, s[14:15]
	s_cbranch_execnz .LBB1_320
.LBB1_192:                              ;   in Loop: Header=BB1_130 Depth=1
	s_or_b64 exec, exec, s[14:15]
	s_and_saveexec_b64 s[14:15], s[2:3]
	s_cbranch_execz .LBB1_194
.LBB1_193:                              ;   in Loop: Header=BB1_130 Depth=1
	v_bfe_u32 v130, v131, 24, 3
	v_ffbh_u32_e32 v161, v130
	v_min_u32_e32 v161, 32, v161
	v_lshrrev_b32_e32 v132, 27, v131
	v_subrev_u32_e32 v162, 28, v161
	v_and_b32_e32 v132, 15, v132
	v_lshlrev_b32_sdwa v162, v162, v131 dst_sel:DWORD dst_unused:UNUSED_PAD src0_sel:DWORD src1_sel:BYTE_3
	v_bfe_u32 v133, v131, 27, 4
	v_sub_u32_e32 v161, 29, v161
	v_and_b32_e32 v162, 7, v162
	v_cmp_eq_u16_e32 vcc, 0, v132
	v_cndmask_b32_e32 v130, v130, v162, vcc
	v_cndmask_b32_e32 v132, v133, v161, vcc
	v_lshlrev_b32_e32 v130, 7, v130
	v_and_b32_sdwa v131, v131, s27 dst_sel:DWORD dst_unused:UNUSED_PAD src0_sel:WORD_1 src1_sel:DWORD
	v_lshl_add_u32 v132, v132, 10, v143
	v_or3_b32 v161, v131, v132, v130
.LBB1_194:                              ;   in Loop: Header=BB1_130 Depth=1
	s_or_b64 exec, exec, s[14:15]
	v_add_u32_e32 v130, v1, v136
	buffer_load_dwordx2 v[130:131], v130, s[8:11], 0 offen
	s_mov_b64 s[2:3], 0
                                        ; implicit-def: $sgpr16
	s_waitcnt vmcnt(0)
	v_and_b32_e32 v132, 0xff, v130
	v_cmp_lt_i16_e32 vcc, s26, v132
	s_and_saveexec_b64 s[14:15], vcc
	s_xor_b64 s[14:15], exec, s[14:15]
	s_cbranch_execnz .LBB1_321
; %bb.195:                              ;   in Loop: Header=BB1_130 Depth=1
	s_or_saveexec_b64 s[14:15], s[14:15]
	v_mov_b32_e32 v162, s16
	s_xor_b64 exec, exec, s[14:15]
	s_cbranch_execnz .LBB1_324
.LBB1_196:                              ;   in Loop: Header=BB1_130 Depth=1
	s_or_b64 exec, exec, s[14:15]
	s_and_saveexec_b64 s[14:15], s[2:3]
	s_cbranch_execz .LBB1_198
.LBB1_197:                              ;   in Loop: Header=BB1_130 Depth=1
	v_and_b32_e32 v132, 7, v130
	v_ffbh_u32_e32 v163, v132
	v_min_u32_e32 v163, 32, v163
	v_lshrrev_b16_e32 v133, 3, v130
	v_subrev_u32_e32 v164, 28, v163
	v_and_b32_e32 v133, 15, v133
	v_lshlrev_b32_e32 v164, v164, v130
	v_and_b32_e32 v162, 0xffff, v133
	v_sub_u32_e32 v163, 29, v163
	v_and_b32_e32 v164, 7, v164
	v_cmp_eq_u16_e32 vcc, 0, v133
	v_cndmask_b32_e32 v132, v132, v164, vcc
	v_cndmask_b32_e32 v133, v162, v163, vcc
	v_lshlrev_b32_e32 v162, 8, v130
	v_lshlrev_b32_e32 v132, 7, v132
	v_and_b32_e32 v162, 0x8000, v162
	v_lshl_add_u32 v133, v133, 10, v143
	v_or3_b32 v162, v162, v133, v132
.LBB1_198:                              ;   in Loop: Header=BB1_130 Depth=1
	s_or_b64 exec, exec, s[14:15]
	v_lshrrev_b32_e32 v132, 8, v130
	v_cmp_gt_i16_sdwa s[14:15], v132, s26 src0_sel:BYTE_0 src1_sel:DWORD
	s_mov_b64 s[2:3], 0
                                        ; implicit-def: $sgpr16
	s_and_saveexec_b64 s[18:19], s[14:15]
	s_xor_b64 s[14:15], exec, s[18:19]
	s_cbranch_execnz .LBB1_325
; %bb.199:                              ;   in Loop: Header=BB1_130 Depth=1
	s_or_saveexec_b64 s[14:15], s[14:15]
	v_mov_b32_e32 v163, s16
	s_xor_b64 exec, exec, s[14:15]
	s_cbranch_execnz .LBB1_328
.LBB1_200:                              ;   in Loop: Header=BB1_130 Depth=1
	s_or_b64 exec, exec, s[14:15]
	s_and_saveexec_b64 s[14:15], s[2:3]
	s_cbranch_execz .LBB1_202
.LBB1_201:                              ;   in Loop: Header=BB1_130 Depth=1
	v_bfe_u32 v133, v130, 8, 3
	v_ffbh_u32_e32 v166, v133
	v_min_u32_e32 v166, 32, v166
	v_lshrrev_b16_e32 v164, 3, v132
	v_subrev_u32_e32 v167, 28, v166
	v_and_b32_e32 v164, 15, v164
	v_lshlrev_b32_e32 v167, v167, v132
	v_and_b32_e32 v165, 0xffff, v164
	v_sub_u32_e32 v166, 29, v166
	v_and_b32_e32 v167, 7, v167
	v_cmp_eq_u16_e32 vcc, 0, v164
	v_cndmask_b32_e32 v133, v133, v167, vcc
	v_cndmask_b32_e32 v164, v165, v166, vcc
	v_and_b32_e32 v163, 0x8000, v130
	v_lshlrev_b32_e32 v133, 7, v133
	v_lshl_add_u32 v164, v164, 10, v143
	v_or3_b32 v163, v163, v164, v133
.LBB1_202:                              ;   in Loop: Header=BB1_130 Depth=1
	s_or_b64 exec, exec, s[14:15]
	v_and_b32_sdwa v133, v130, s25 dst_sel:DWORD dst_unused:UNUSED_PAD src0_sel:WORD_1 src1_sel:DWORD
	v_cmp_lt_i16_e32 vcc, s26, v133
	s_mov_b64 s[2:3], 0
                                        ; implicit-def: $sgpr16
	s_and_saveexec_b64 s[14:15], vcc
	s_xor_b64 s[14:15], exec, s[14:15]
	s_cbranch_execnz .LBB1_329
; %bb.203:                              ;   in Loop: Header=BB1_130 Depth=1
	s_or_saveexec_b64 s[14:15], s[14:15]
	v_mov_b32_e32 v164, s16
	s_xor_b64 exec, exec, s[14:15]
	s_cbranch_execnz .LBB1_332
.LBB1_204:                              ;   in Loop: Header=BB1_130 Depth=1
	s_or_b64 exec, exec, s[14:15]
	s_and_saveexec_b64 s[14:15], s[2:3]
	s_cbranch_execz .LBB1_206
.LBB1_205:                              ;   in Loop: Header=BB1_130 Depth=1
	v_bfe_u32 v133, v130, 16, 3
	v_ffbh_u32_e32 v166, v133
	v_min_u32_e32 v166, 32, v166
	v_lshrrev_b32_e32 v164, 19, v130
	v_subrev_u32_e32 v167, 28, v166
	v_and_b32_e32 v164, 15, v164
	v_lshlrev_b32_sdwa v167, v167, v130 dst_sel:DWORD dst_unused:UNUSED_PAD src0_sel:DWORD src1_sel:WORD_1
	v_bfe_u32 v165, v130, 19, 4
	v_sub_u32_e32 v166, 29, v166
	v_and_b32_e32 v167, 7, v167
	v_cmp_eq_u16_e32 vcc, 0, v164
	v_cndmask_b32_e32 v133, v133, v167, vcc
	v_cndmask_b32_e32 v164, v165, v166, vcc
	v_lshlrev_b32_e32 v133, 7, v133
	v_and_b32_e32 v132, 0x8000, v132
	v_lshl_add_u32 v164, v164, 10, v143
	v_or3_b32 v164, v132, v164, v133
.LBB1_206:                              ;   in Loop: Header=BB1_130 Depth=1
	s_or_b64 exec, exec, s[14:15]
	v_cmp_gt_i16_sdwa s[14:15], v130, s26 src0_sel:BYTE_3 src1_sel:DWORD
	s_mov_b64 s[2:3], 0
                                        ; implicit-def: $sgpr16
	s_and_saveexec_b64 s[18:19], s[14:15]
	s_xor_b64 s[14:15], exec, s[18:19]
	s_cbranch_execnz .LBB1_333
; %bb.207:                              ;   in Loop: Header=BB1_130 Depth=1
	s_or_saveexec_b64 s[14:15], s[14:15]
	v_mov_b32_e32 v165, s16
	s_xor_b64 exec, exec, s[14:15]
	s_cbranch_execnz .LBB1_336
.LBB1_208:                              ;   in Loop: Header=BB1_130 Depth=1
	s_or_b64 exec, exec, s[14:15]
	s_and_saveexec_b64 s[14:15], s[2:3]
	s_cbranch_execz .LBB1_210
.LBB1_209:                              ;   in Loop: Header=BB1_130 Depth=1
	v_bfe_u32 v132, v130, 24, 3
	v_ffbh_u32_e32 v166, v132
	v_min_u32_e32 v166, 32, v166
	v_lshrrev_b32_e32 v133, 27, v130
	v_subrev_u32_e32 v167, 28, v166
	v_and_b32_e32 v133, 15, v133
	v_lshlrev_b32_sdwa v167, v167, v130 dst_sel:DWORD dst_unused:UNUSED_PAD src0_sel:DWORD src1_sel:BYTE_3
	v_bfe_u32 v165, v130, 27, 4
	v_sub_u32_e32 v166, 29, v166
	v_and_b32_e32 v167, 7, v167
	v_cmp_eq_u16_e32 vcc, 0, v133
	v_cndmask_b32_e32 v132, v132, v167, vcc
	v_cndmask_b32_e32 v133, v165, v166, vcc
	v_lshlrev_b32_e32 v132, 7, v132
	v_and_b32_sdwa v130, v130, s27 dst_sel:DWORD dst_unused:UNUSED_PAD src0_sel:WORD_1 src1_sel:DWORD
	v_lshl_add_u32 v133, v133, 10, v143
	v_or3_b32 v165, v130, v133, v132
.LBB1_210:                              ;   in Loop: Header=BB1_130 Depth=1
	s_or_b64 exec, exec, s[14:15]
	v_cmp_gt_i16_sdwa s[14:15], v131, s26 src0_sel:BYTE_0 src1_sel:DWORD
	s_mov_b64 s[2:3], 0
                                        ; implicit-def: $sgpr16
	s_and_saveexec_b64 s[18:19], s[14:15]
	s_xor_b64 s[14:15], exec, s[18:19]
	s_cbranch_execnz .LBB1_337
; %bb.211:                              ;   in Loop: Header=BB1_130 Depth=1
	s_or_saveexec_b64 s[14:15], s[14:15]
	v_mov_b32_e32 v166, s16
	s_xor_b64 exec, exec, s[14:15]
	s_cbranch_execnz .LBB1_340
.LBB1_212:                              ;   in Loop: Header=BB1_130 Depth=1
	s_or_b64 exec, exec, s[14:15]
	s_and_saveexec_b64 s[14:15], s[2:3]
	s_cbranch_execz .LBB1_214
.LBB1_213:                              ;   in Loop: Header=BB1_130 Depth=1
	v_and_b32_e32 v130, 7, v131
	v_ffbh_u32_e32 v166, v130
	v_min_u32_e32 v166, 32, v166
	v_lshrrev_b16_e32 v132, 3, v131
	v_subrev_u32_e32 v167, 28, v166
	v_and_b32_e32 v132, 15, v132
	v_lshlrev_b32_e32 v167, v167, v131
	v_and_b32_e32 v133, 0xffff, v132
	v_sub_u32_e32 v166, 29, v166
	v_and_b32_e32 v167, 7, v167
	v_cmp_eq_u16_e32 vcc, 0, v132
	v_cndmask_b32_e32 v130, v130, v167, vcc
	v_cndmask_b32_e32 v132, v133, v166, vcc
	v_lshlrev_b32_e32 v133, 8, v131
	v_lshlrev_b32_e32 v130, 7, v130
	v_and_b32_e32 v133, 0x8000, v133
	v_lshl_add_u32 v132, v132, 10, v143
	v_or3_b32 v166, v133, v132, v130
.LBB1_214:                              ;   in Loop: Header=BB1_130 Depth=1
	s_or_b64 exec, exec, s[14:15]
	v_lshrrev_b32_e32 v130, 8, v131
	v_cmp_gt_i16_sdwa s[14:15], v130, s26 src0_sel:BYTE_0 src1_sel:DWORD
	s_mov_b64 s[2:3], 0
                                        ; implicit-def: $sgpr16
	s_and_saveexec_b64 s[18:19], s[14:15]
	s_xor_b64 s[14:15], exec, s[18:19]
	s_cbranch_execnz .LBB1_341
; %bb.215:                              ;   in Loop: Header=BB1_130 Depth=1
	s_or_saveexec_b64 s[14:15], s[14:15]
	v_mov_b32_e32 v167, s16
	s_xor_b64 exec, exec, s[14:15]
	s_cbranch_execnz .LBB1_344
.LBB1_216:                              ;   in Loop: Header=BB1_130 Depth=1
	s_or_b64 exec, exec, s[14:15]
	s_and_saveexec_b64 s[14:15], s[2:3]
	s_cbranch_execz .LBB1_218
.LBB1_217:                              ;   in Loop: Header=BB1_130 Depth=1
	v_bfe_u32 v132, v131, 8, 3
	v_ffbh_u32_e32 v169, v132
	v_min_u32_e32 v169, 32, v169
	v_lshrrev_b16_e32 v167, 3, v130
	v_subrev_u32_e32 v171, 28, v169
	v_and_b32_e32 v167, 15, v167
	v_lshlrev_b32_e32 v171, v171, v130
	v_and_b32_e32 v168, 0xffff, v167
	v_sub_u32_e32 v169, 29, v169
	v_and_b32_e32 v171, 7, v171
	v_cmp_eq_u16_e32 vcc, 0, v167
	v_cndmask_b32_e32 v132, v132, v171, vcc
	v_cndmask_b32_e32 v167, v168, v169, vcc
	v_and_b32_e32 v133, 0x8000, v131
	v_lshlrev_b32_e32 v132, 7, v132
	v_lshl_add_u32 v167, v167, 10, v143
	v_or3_b32 v167, v133, v167, v132
.LBB1_218:                              ;   in Loop: Header=BB1_130 Depth=1
	s_or_b64 exec, exec, s[14:15]
	v_and_b32_sdwa v132, v131, s25 dst_sel:DWORD dst_unused:UNUSED_PAD src0_sel:WORD_1 src1_sel:DWORD
	v_cmp_lt_i16_e32 vcc, s26, v132
	s_mov_b64 s[2:3], 0
                                        ; implicit-def: $sgpr16
	s_and_saveexec_b64 s[14:15], vcc
	s_xor_b64 s[14:15], exec, s[14:15]
	s_cbranch_execnz .LBB1_345
; %bb.219:                              ;   in Loop: Header=BB1_130 Depth=1
	s_or_saveexec_b64 s[14:15], s[14:15]
	v_mov_b32_e32 v168, s16
	s_xor_b64 exec, exec, s[14:15]
	s_cbranch_execnz .LBB1_348
.LBB1_220:                              ;   in Loop: Header=BB1_130 Depth=1
	s_or_b64 exec, exec, s[14:15]
	s_and_saveexec_b64 s[14:15], s[2:3]
	s_cbranch_execz .LBB1_222
.LBB1_221:                              ;   in Loop: Header=BB1_130 Depth=1
	v_bfe_u32 v132, v131, 16, 3
	v_ffbh_u32_e32 v169, v132
	v_min_u32_e32 v169, 32, v169
	v_lshrrev_b32_e32 v133, 19, v131
	v_subrev_u32_e32 v171, 28, v169
	v_and_b32_e32 v133, 15, v133
	v_lshlrev_b32_sdwa v171, v171, v131 dst_sel:DWORD dst_unused:UNUSED_PAD src0_sel:DWORD src1_sel:WORD_1
	v_bfe_u32 v168, v131, 19, 4
	v_sub_u32_e32 v169, 29, v169
	v_and_b32_e32 v171, 7, v171
	v_cmp_eq_u16_e32 vcc, 0, v133
	v_cndmask_b32_e32 v132, v132, v171, vcc
	v_cndmask_b32_e32 v133, v168, v169, vcc
	v_lshlrev_b32_e32 v132, 7, v132
	v_and_b32_e32 v130, 0x8000, v130
	v_lshl_add_u32 v133, v133, 10, v143
	v_or3_b32 v168, v130, v133, v132
.LBB1_222:                              ;   in Loop: Header=BB1_130 Depth=1
	s_or_b64 exec, exec, s[14:15]
	v_cmp_gt_i16_sdwa s[14:15], v131, s26 src0_sel:BYTE_3 src1_sel:DWORD
	s_mov_b64 s[2:3], 0
                                        ; implicit-def: $sgpr16
	s_and_saveexec_b64 s[18:19], s[14:15]
	s_xor_b64 s[14:15], exec, s[18:19]
	s_cbranch_execnz .LBB1_349
; %bb.223:                              ;   in Loop: Header=BB1_130 Depth=1
	s_or_saveexec_b64 s[14:15], s[14:15]
	v_mov_b32_e32 v169, s16
	s_xor_b64 exec, exec, s[14:15]
	s_cbranch_execnz .LBB1_352
.LBB1_224:                              ;   in Loop: Header=BB1_130 Depth=1
	s_or_b64 exec, exec, s[14:15]
	s_and_saveexec_b64 s[14:15], s[2:3]
	s_cbranch_execz .LBB1_226
.LBB1_225:                              ;   in Loop: Header=BB1_130 Depth=1
	v_bfe_u32 v130, v131, 24, 3
	v_ffbh_u32_e32 v169, v130
	v_min_u32_e32 v169, 32, v169
	v_lshrrev_b32_e32 v132, 27, v131
	v_subrev_u32_e32 v171, 28, v169
	v_and_b32_e32 v132, 15, v132
	v_lshlrev_b32_sdwa v171, v171, v131 dst_sel:DWORD dst_unused:UNUSED_PAD src0_sel:DWORD src1_sel:BYTE_3
	v_bfe_u32 v133, v131, 27, 4
	v_sub_u32_e32 v169, 29, v169
	v_and_b32_e32 v171, 7, v171
	v_cmp_eq_u16_e32 vcc, 0, v132
	v_cndmask_b32_e32 v130, v130, v171, vcc
	v_cndmask_b32_e32 v132, v133, v169, vcc
	v_lshlrev_b32_e32 v130, 7, v130
	v_and_b32_sdwa v131, v131, s27 dst_sel:DWORD dst_unused:UNUSED_PAD src0_sel:WORD_1 src1_sel:DWORD
	v_lshl_add_u32 v132, v132, 10, v143
	v_or3_b32 v169, v131, v132, v130
.LBB1_226:                              ;   in Loop: Header=BB1_130 Depth=1
	s_or_b64 exec, exec, s[14:15]
	v_add_u32_e32 v130, v1, v134
	buffer_load_dwordx2 v[130:131], v130, s[8:11], 0 offen
	s_mov_b64 s[2:3], 0
                                        ; implicit-def: $sgpr16
	s_waitcnt vmcnt(0)
	v_and_b32_e32 v132, 0xff, v130
	v_cmp_lt_i16_e32 vcc, s26, v132
	s_and_saveexec_b64 s[14:15], vcc
	s_xor_b64 s[14:15], exec, s[14:15]
	s_cbranch_execnz .LBB1_353
; %bb.227:                              ;   in Loop: Header=BB1_130 Depth=1
	s_or_saveexec_b64 s[14:15], s[14:15]
	v_mov_b32_e32 v171, s16
	s_xor_b64 exec, exec, s[14:15]
	s_cbranch_execnz .LBB1_356
.LBB1_228:                              ;   in Loop: Header=BB1_130 Depth=1
	s_or_b64 exec, exec, s[14:15]
	s_and_saveexec_b64 s[14:15], s[2:3]
	s_cbranch_execz .LBB1_230
.LBB1_229:                              ;   in Loop: Header=BB1_130 Depth=1
	v_and_b32_e32 v132, 7, v130
	v_ffbh_u32_e32 v172, v132
	v_min_u32_e32 v172, 32, v172
	v_lshrrev_b16_e32 v133, 3, v130
	v_subrev_u32_e32 v173, 28, v172
	v_and_b32_e32 v133, 15, v133
	v_lshlrev_b32_e32 v173, v173, v130
	v_and_b32_e32 v171, 0xffff, v133
	v_sub_u32_e32 v172, 29, v172
	v_and_b32_e32 v173, 7, v173
	v_cmp_eq_u16_e32 vcc, 0, v133
	v_cndmask_b32_e32 v132, v132, v173, vcc
	v_cndmask_b32_e32 v133, v171, v172, vcc
	v_lshlrev_b32_e32 v171, 8, v130
	v_lshlrev_b32_e32 v132, 7, v132
	v_and_b32_e32 v171, 0x8000, v171
	v_lshl_add_u32 v133, v133, 10, v143
	v_or3_b32 v171, v171, v133, v132
.LBB1_230:                              ;   in Loop: Header=BB1_130 Depth=1
	s_or_b64 exec, exec, s[14:15]
	v_lshrrev_b32_e32 v132, 8, v130
	v_cmp_gt_i16_sdwa s[14:15], v132, s26 src0_sel:BYTE_0 src1_sel:DWORD
	s_mov_b64 s[2:3], 0
                                        ; implicit-def: $sgpr16
	s_and_saveexec_b64 s[18:19], s[14:15]
	s_xor_b64 s[14:15], exec, s[18:19]
	s_cbranch_execnz .LBB1_357
; %bb.231:                              ;   in Loop: Header=BB1_130 Depth=1
	s_or_saveexec_b64 s[14:15], s[14:15]
	v_mov_b32_e32 v172, s16
	s_xor_b64 exec, exec, s[14:15]
	s_cbranch_execnz .LBB1_360
.LBB1_232:                              ;   in Loop: Header=BB1_130 Depth=1
	s_or_b64 exec, exec, s[14:15]
	s_and_saveexec_b64 s[14:15], s[2:3]
	s_cbranch_execz .LBB1_234
.LBB1_233:                              ;   in Loop: Header=BB1_130 Depth=1
	v_bfe_u32 v133, v130, 8, 3
	v_ffbh_u32_e32 v175, v133
	v_min_u32_e32 v175, 32, v175
	v_lshrrev_b16_e32 v173, 3, v132
	v_subrev_u32_e32 v176, 28, v175
	v_and_b32_e32 v173, 15, v173
	v_lshlrev_b32_e32 v176, v176, v132
	v_and_b32_e32 v174, 0xffff, v173
	v_sub_u32_e32 v175, 29, v175
	v_and_b32_e32 v176, 7, v176
	v_cmp_eq_u16_e32 vcc, 0, v173
	v_cndmask_b32_e32 v133, v133, v176, vcc
	v_cndmask_b32_e32 v173, v174, v175, vcc
	v_and_b32_e32 v172, 0x8000, v130
	v_lshlrev_b32_e32 v133, 7, v133
	v_lshl_add_u32 v173, v173, 10, v143
	v_or3_b32 v172, v172, v173, v133
.LBB1_234:                              ;   in Loop: Header=BB1_130 Depth=1
	s_or_b64 exec, exec, s[14:15]
	v_and_b32_sdwa v133, v130, s25 dst_sel:DWORD dst_unused:UNUSED_PAD src0_sel:WORD_1 src1_sel:DWORD
	v_cmp_lt_i16_e32 vcc, s26, v133
	s_mov_b64 s[2:3], 0
                                        ; implicit-def: $sgpr16
	s_and_saveexec_b64 s[14:15], vcc
	s_xor_b64 s[14:15], exec, s[14:15]
	s_cbranch_execnz .LBB1_361
; %bb.235:                              ;   in Loop: Header=BB1_130 Depth=1
	s_or_saveexec_b64 s[14:15], s[14:15]
	v_mov_b32_e32 v173, s16
	s_xor_b64 exec, exec, s[14:15]
	s_cbranch_execnz .LBB1_364
.LBB1_236:                              ;   in Loop: Header=BB1_130 Depth=1
	s_or_b64 exec, exec, s[14:15]
	s_and_saveexec_b64 s[14:15], s[2:3]
	s_cbranch_execz .LBB1_238
.LBB1_237:                              ;   in Loop: Header=BB1_130 Depth=1
	v_bfe_u32 v133, v130, 16, 3
	v_ffbh_u32_e32 v175, v133
	v_min_u32_e32 v175, 32, v175
	v_lshrrev_b32_e32 v173, 19, v130
	v_subrev_u32_e32 v176, 28, v175
	v_and_b32_e32 v173, 15, v173
	v_lshlrev_b32_sdwa v176, v176, v130 dst_sel:DWORD dst_unused:UNUSED_PAD src0_sel:DWORD src1_sel:WORD_1
	v_bfe_u32 v174, v130, 19, 4
	v_sub_u32_e32 v175, 29, v175
	v_and_b32_e32 v176, 7, v176
	v_cmp_eq_u16_e32 vcc, 0, v173
	v_cndmask_b32_e32 v133, v133, v176, vcc
	v_cndmask_b32_e32 v173, v174, v175, vcc
	v_lshlrev_b32_e32 v133, 7, v133
	v_and_b32_e32 v132, 0x8000, v132
	v_lshl_add_u32 v173, v173, 10, v143
	v_or3_b32 v173, v132, v173, v133
.LBB1_238:                              ;   in Loop: Header=BB1_130 Depth=1
	s_or_b64 exec, exec, s[14:15]
	v_cmp_gt_i16_sdwa s[14:15], v130, s26 src0_sel:BYTE_3 src1_sel:DWORD
	s_mov_b64 s[2:3], 0
                                        ; implicit-def: $sgpr16
	s_and_saveexec_b64 s[18:19], s[14:15]
	s_xor_b64 s[14:15], exec, s[18:19]
	s_cbranch_execnz .LBB1_365
; %bb.239:                              ;   in Loop: Header=BB1_130 Depth=1
	s_or_saveexec_b64 s[14:15], s[14:15]
	v_mov_b32_e32 v174, s16
	s_xor_b64 exec, exec, s[14:15]
	s_cbranch_execnz .LBB1_368
.LBB1_240:                              ;   in Loop: Header=BB1_130 Depth=1
	s_or_b64 exec, exec, s[14:15]
	s_and_saveexec_b64 s[14:15], s[2:3]
	s_cbranch_execz .LBB1_242
.LBB1_241:                              ;   in Loop: Header=BB1_130 Depth=1
	v_bfe_u32 v132, v130, 24, 3
	v_ffbh_u32_e32 v175, v132
	v_min_u32_e32 v175, 32, v175
	v_lshrrev_b32_e32 v133, 27, v130
	v_subrev_u32_e32 v176, 28, v175
	v_and_b32_e32 v133, 15, v133
	v_lshlrev_b32_sdwa v176, v176, v130 dst_sel:DWORD dst_unused:UNUSED_PAD src0_sel:DWORD src1_sel:BYTE_3
	v_bfe_u32 v174, v130, 27, 4
	v_sub_u32_e32 v175, 29, v175
	v_and_b32_e32 v176, 7, v176
	v_cmp_eq_u16_e32 vcc, 0, v133
	v_cndmask_b32_e32 v132, v132, v176, vcc
	v_cndmask_b32_e32 v133, v174, v175, vcc
	v_lshlrev_b32_e32 v132, 7, v132
	v_and_b32_sdwa v130, v130, s27 dst_sel:DWORD dst_unused:UNUSED_PAD src0_sel:WORD_1 src1_sel:DWORD
	v_lshl_add_u32 v133, v133, 10, v143
	v_or3_b32 v174, v130, v133, v132
.LBB1_242:                              ;   in Loop: Header=BB1_130 Depth=1
	s_or_b64 exec, exec, s[14:15]
	v_cmp_gt_i16_sdwa s[14:15], v131, s26 src0_sel:BYTE_0 src1_sel:DWORD
	s_mov_b64 s[2:3], 0
                                        ; implicit-def: $sgpr16
	s_and_saveexec_b64 s[18:19], s[14:15]
	s_xor_b64 s[14:15], exec, s[18:19]
	s_cbranch_execnz .LBB1_369
; %bb.243:                              ;   in Loop: Header=BB1_130 Depth=1
	s_or_saveexec_b64 s[14:15], s[14:15]
	v_mov_b32_e32 v175, s16
	s_xor_b64 exec, exec, s[14:15]
	s_cbranch_execnz .LBB1_372
.LBB1_244:                              ;   in Loop: Header=BB1_130 Depth=1
	s_or_b64 exec, exec, s[14:15]
	s_and_saveexec_b64 s[14:15], s[2:3]
	s_cbranch_execz .LBB1_246
.LBB1_245:                              ;   in Loop: Header=BB1_130 Depth=1
	v_and_b32_e32 v130, 7, v131
	v_ffbh_u32_e32 v175, v130
	v_min_u32_e32 v175, 32, v175
	v_lshrrev_b16_e32 v132, 3, v131
	v_subrev_u32_e32 v176, 28, v175
	v_and_b32_e32 v132, 15, v132
	v_lshlrev_b32_e32 v176, v176, v131
	v_and_b32_e32 v133, 0xffff, v132
	v_sub_u32_e32 v175, 29, v175
	v_and_b32_e32 v176, 7, v176
	v_cmp_eq_u16_e32 vcc, 0, v132
	v_cndmask_b32_e32 v130, v130, v176, vcc
	v_cndmask_b32_e32 v132, v133, v175, vcc
	v_lshlrev_b32_e32 v133, 8, v131
	v_lshlrev_b32_e32 v130, 7, v130
	v_and_b32_e32 v133, 0x8000, v133
	v_lshl_add_u32 v132, v132, 10, v143
	v_or3_b32 v175, v133, v132, v130
.LBB1_246:                              ;   in Loop: Header=BB1_130 Depth=1
	s_or_b64 exec, exec, s[14:15]
	v_lshrrev_b32_e32 v130, 8, v131
	v_cmp_gt_i16_sdwa s[14:15], v130, s26 src0_sel:BYTE_0 src1_sel:DWORD
	s_mov_b64 s[2:3], 0
                                        ; implicit-def: $sgpr16
	s_and_saveexec_b64 s[18:19], s[14:15]
	s_xor_b64 s[14:15], exec, s[18:19]
	s_cbranch_execnz .LBB1_373
; %bb.247:                              ;   in Loop: Header=BB1_130 Depth=1
	s_or_saveexec_b64 s[14:15], s[14:15]
	v_mov_b32_e32 v176, s16
	s_xor_b64 exec, exec, s[14:15]
	s_cbranch_execnz .LBB1_376
.LBB1_248:                              ;   in Loop: Header=BB1_130 Depth=1
	s_or_b64 exec, exec, s[14:15]
	s_and_saveexec_b64 s[14:15], s[2:3]
	s_cbranch_execz .LBB1_250
.LBB1_249:                              ;   in Loop: Header=BB1_130 Depth=1
	v_bfe_u32 v132, v131, 8, 3
	v_ffbh_u32_e32 v178, v132
	v_min_u32_e32 v178, 32, v178
	v_lshrrev_b16_e32 v176, 3, v130
	v_subrev_u32_e32 v179, 28, v178
	v_and_b32_e32 v176, 15, v176
	v_lshlrev_b32_e32 v179, v179, v130
	v_and_b32_e32 v177, 0xffff, v176
	v_sub_u32_e32 v178, 29, v178
	v_and_b32_e32 v179, 7, v179
	v_cmp_eq_u16_e32 vcc, 0, v176
	v_cndmask_b32_e32 v132, v132, v179, vcc
	v_cndmask_b32_e32 v176, v177, v178, vcc
	v_and_b32_e32 v133, 0x8000, v131
	v_lshlrev_b32_e32 v132, 7, v132
	v_lshl_add_u32 v176, v176, 10, v143
	v_or3_b32 v176, v133, v176, v132
.LBB1_250:                              ;   in Loop: Header=BB1_130 Depth=1
	s_or_b64 exec, exec, s[14:15]
	v_and_b32_sdwa v132, v131, s25 dst_sel:DWORD dst_unused:UNUSED_PAD src0_sel:WORD_1 src1_sel:DWORD
	v_cmp_lt_i16_e32 vcc, s26, v132
	s_mov_b64 s[2:3], 0
                                        ; implicit-def: $sgpr16
	s_and_saveexec_b64 s[14:15], vcc
	s_xor_b64 s[14:15], exec, s[14:15]
	s_cbranch_execnz .LBB1_377
; %bb.251:                              ;   in Loop: Header=BB1_130 Depth=1
	s_or_saveexec_b64 s[14:15], s[14:15]
	v_mov_b32_e32 v177, s16
	s_xor_b64 exec, exec, s[14:15]
	s_cbranch_execnz .LBB1_380
.LBB1_252:                              ;   in Loop: Header=BB1_130 Depth=1
	s_or_b64 exec, exec, s[14:15]
	s_and_saveexec_b64 s[14:15], s[2:3]
	s_cbranch_execz .LBB1_254
.LBB1_253:                              ;   in Loop: Header=BB1_130 Depth=1
	v_bfe_u32 v132, v131, 16, 3
	v_ffbh_u32_e32 v178, v132
	v_min_u32_e32 v178, 32, v178
	v_lshrrev_b32_e32 v133, 19, v131
	v_subrev_u32_e32 v179, 28, v178
	v_and_b32_e32 v133, 15, v133
	v_lshlrev_b32_sdwa v179, v179, v131 dst_sel:DWORD dst_unused:UNUSED_PAD src0_sel:DWORD src1_sel:WORD_1
	v_bfe_u32 v177, v131, 19, 4
	v_sub_u32_e32 v178, 29, v178
	v_and_b32_e32 v179, 7, v179
	v_cmp_eq_u16_e32 vcc, 0, v133
	v_cndmask_b32_e32 v132, v132, v179, vcc
	v_cndmask_b32_e32 v133, v177, v178, vcc
	v_lshlrev_b32_e32 v132, 7, v132
	v_and_b32_e32 v130, 0x8000, v130
	v_lshl_add_u32 v133, v133, 10, v143
	v_or3_b32 v177, v130, v133, v132
.LBB1_254:                              ;   in Loop: Header=BB1_130 Depth=1
	s_or_b64 exec, exec, s[14:15]
	v_cmp_gt_i16_sdwa s[14:15], v131, s26 src0_sel:BYTE_3 src1_sel:DWORD
	s_mov_b64 s[2:3], 0
                                        ; implicit-def: $sgpr16
	s_and_saveexec_b64 s[18:19], s[14:15]
	s_xor_b64 s[14:15], exec, s[18:19]
	s_cbranch_execnz .LBB1_381
; %bb.255:                              ;   in Loop: Header=BB1_130 Depth=1
	s_or_saveexec_b64 s[14:15], s[14:15]
	v_mov_b32_e32 v178, s16
	s_xor_b64 exec, exec, s[14:15]
	s_cbranch_execnz .LBB1_384
.LBB1_256:                              ;   in Loop: Header=BB1_130 Depth=1
	s_or_b64 exec, exec, s[14:15]
	s_and_saveexec_b64 s[14:15], s[2:3]
	s_cbranch_execz .LBB1_129
	s_branch .LBB1_385
.LBB1_257:                              ;   in Loop: Header=BB1_130 Depth=1
	v_cmp_eq_u16_e32 vcc, s23, v132
	s_mov_b64 s[2:3], -1
                                        ; implicit-def: $sgpr16
	s_and_saveexec_b64 s[18:19], vcc
; %bb.258:                              ;   in Loop: Header=BB1_130 Depth=1
	s_movk_i32 s16, 0x7c01
	s_xor_b64 s[2:3], exec, -1
; %bb.259:                              ;   in Loop: Header=BB1_130 Depth=1
	s_or_b64 exec, exec, s[18:19]
	s_and_b64 s[2:3], s[2:3], exec
                                        ; implicit-def: $vgpr132
	s_or_saveexec_b64 s[14:15], s[14:15]
	v_mov_b32_e32 v146, s16
	s_xor_b64 exec, exec, s[14:15]
	s_cbranch_execz .LBB1_132
.LBB1_260:                              ;   in Loop: Header=BB1_130 Depth=1
	v_cmp_ne_u16_e32 vcc, 0, v132
	s_andn2_b64 s[2:3], s[2:3], exec
	s_and_b64 s[18:19], vcc, exec
	s_or_b64 s[2:3], s[2:3], s[18:19]
	v_mov_b32_e32 v146, v132
	s_or_b64 exec, exec, s[14:15]
	s_and_saveexec_b64 s[14:15], s[2:3]
	s_cbranch_execnz .LBB1_133
	s_branch .LBB1_134
.LBB1_261:                              ;   in Loop: Header=BB1_130 Depth=1
	v_cmp_eq_u16_sdwa s[30:31], v132, s23 src0_sel:BYTE_0 src1_sel:DWORD
	s_mov_b64 s[2:3], -1
                                        ; implicit-def: $sgpr16
	s_and_saveexec_b64 s[18:19], s[30:31]
; %bb.262:                              ;   in Loop: Header=BB1_130 Depth=1
	s_movk_i32 s16, 0x7c01
	s_xor_b64 s[2:3], exec, -1
; %bb.263:                              ;   in Loop: Header=BB1_130 Depth=1
	s_or_b64 exec, exec, s[18:19]
	s_and_b64 s[2:3], s[2:3], exec
	s_or_saveexec_b64 s[14:15], s[14:15]
	v_mov_b32_e32 v147, s16
	s_xor_b64 exec, exec, s[14:15]
	s_cbranch_execz .LBB1_136
.LBB1_264:                              ;   in Loop: Header=BB1_130 Depth=1
	v_cmp_ne_u16_sdwa s[18:19], v132, v141 src0_sel:BYTE_0 src1_sel:DWORD
	s_andn2_b64 s[2:3], s[2:3], exec
	s_and_b64 s[18:19], s[18:19], exec
	v_mov_b32_e32 v147, 0
	s_or_b64 s[2:3], s[2:3], s[18:19]
	s_or_b64 exec, exec, s[14:15]
	s_and_saveexec_b64 s[14:15], s[2:3]
	s_cbranch_execnz .LBB1_137
	s_branch .LBB1_138
.LBB1_265:                              ;   in Loop: Header=BB1_130 Depth=1
	v_cmp_eq_u16_e32 vcc, s23, v133
	s_mov_b64 s[2:3], -1
                                        ; implicit-def: $sgpr16
	s_and_saveexec_b64 s[18:19], vcc
; %bb.266:                              ;   in Loop: Header=BB1_130 Depth=1
	s_movk_i32 s16, 0x7c01
	s_xor_b64 s[2:3], exec, -1
; %bb.267:                              ;   in Loop: Header=BB1_130 Depth=1
	s_or_b64 exec, exec, s[18:19]
	s_and_b64 s[2:3], s[2:3], exec
                                        ; implicit-def: $vgpr133
	s_or_saveexec_b64 s[14:15], s[14:15]
	v_mov_b32_e32 v148, s16
	s_xor_b64 exec, exec, s[14:15]
	s_cbranch_execz .LBB1_140
.LBB1_268:                              ;   in Loop: Header=BB1_130 Depth=1
	v_cmp_ne_u16_e32 vcc, 0, v133
	s_andn2_b64 s[2:3], s[2:3], exec
	s_and_b64 s[18:19], vcc, exec
	v_mov_b32_e32 v148, 0
	s_or_b64 s[2:3], s[2:3], s[18:19]
	s_or_b64 exec, exec, s[14:15]
	s_and_saveexec_b64 s[14:15], s[2:3]
	s_cbranch_execnz .LBB1_141
	s_branch .LBB1_142
.LBB1_269:                              ;   in Loop: Header=BB1_130 Depth=1
	v_cmp_eq_u16_sdwa s[30:31], v130, s23 src0_sel:BYTE_3 src1_sel:DWORD
	s_mov_b64 s[2:3], -1
                                        ; implicit-def: $sgpr16
	s_and_saveexec_b64 s[18:19], s[30:31]
; %bb.270:                              ;   in Loop: Header=BB1_130 Depth=1
	s_movk_i32 s16, 0x7c01
	s_xor_b64 s[2:3], exec, -1
; %bb.271:                              ;   in Loop: Header=BB1_130 Depth=1
	s_or_b64 exec, exec, s[18:19]
	s_and_b64 s[2:3], s[2:3], exec
	s_or_saveexec_b64 s[14:15], s[14:15]
	v_mov_b32_e32 v149, s16
	s_xor_b64 exec, exec, s[14:15]
	s_cbranch_execz .LBB1_144
.LBB1_272:                              ;   in Loop: Header=BB1_130 Depth=1
	v_cmp_ne_u16_sdwa s[18:19], v130, v141 src0_sel:BYTE_3 src1_sel:DWORD
	s_andn2_b64 s[2:3], s[2:3], exec
	s_and_b64 s[18:19], s[18:19], exec
	v_mov_b32_e32 v149, 0
	s_or_b64 s[2:3], s[2:3], s[18:19]
	s_or_b64 exec, exec, s[14:15]
	s_and_saveexec_b64 s[14:15], s[2:3]
	s_cbranch_execnz .LBB1_145
	s_branch .LBB1_146
.LBB1_273:                              ;   in Loop: Header=BB1_130 Depth=1
	v_cmp_eq_u16_sdwa s[30:31], v131, s23 src0_sel:BYTE_0 src1_sel:DWORD
	s_mov_b64 s[2:3], -1
                                        ; implicit-def: $sgpr16
	s_and_saveexec_b64 s[18:19], s[30:31]
; %bb.274:                              ;   in Loop: Header=BB1_130 Depth=1
	s_movk_i32 s16, 0x7c01
	s_xor_b64 s[2:3], exec, -1
; %bb.275:                              ;   in Loop: Header=BB1_130 Depth=1
	s_or_b64 exec, exec, s[18:19]
	s_and_b64 s[2:3], s[2:3], exec
	s_or_saveexec_b64 s[14:15], s[14:15]
	v_mov_b32_e32 v150, s16
	s_xor_b64 exec, exec, s[14:15]
	s_cbranch_execz .LBB1_148
.LBB1_276:                              ;   in Loop: Header=BB1_130 Depth=1
	v_cmp_ne_u16_sdwa s[18:19], v131, v141 src0_sel:BYTE_0 src1_sel:DWORD
	s_andn2_b64 s[2:3], s[2:3], exec
	s_and_b64 s[18:19], s[18:19], exec
	v_mov_b32_e32 v150, 0
	s_or_b64 s[2:3], s[2:3], s[18:19]
	s_or_b64 exec, exec, s[14:15]
	s_and_saveexec_b64 s[14:15], s[2:3]
	s_cbranch_execnz .LBB1_149
	s_branch .LBB1_150
.LBB1_277:                              ;   in Loop: Header=BB1_130 Depth=1
	v_cmp_eq_u16_sdwa s[30:31], v130, s23 src0_sel:BYTE_0 src1_sel:DWORD
	s_mov_b64 s[2:3], -1
                                        ; implicit-def: $sgpr16
	s_and_saveexec_b64 s[18:19], s[30:31]
; %bb.278:                              ;   in Loop: Header=BB1_130 Depth=1
	s_movk_i32 s16, 0x7c01
	s_xor_b64 s[2:3], exec, -1
; %bb.279:                              ;   in Loop: Header=BB1_130 Depth=1
	s_or_b64 exec, exec, s[18:19]
	s_and_b64 s[2:3], s[2:3], exec
	s_or_saveexec_b64 s[14:15], s[14:15]
	v_mov_b32_e32 v151, s16
	s_xor_b64 exec, exec, s[14:15]
	s_cbranch_execz .LBB1_152
.LBB1_280:                              ;   in Loop: Header=BB1_130 Depth=1
	v_cmp_ne_u16_sdwa s[18:19], v130, v141 src0_sel:BYTE_0 src1_sel:DWORD
	s_andn2_b64 s[2:3], s[2:3], exec
	s_and_b64 s[18:19], s[18:19], exec
	v_mov_b32_e32 v151, 0
	s_or_b64 s[2:3], s[2:3], s[18:19]
	s_or_b64 exec, exec, s[14:15]
	s_and_saveexec_b64 s[14:15], s[2:3]
	s_cbranch_execnz .LBB1_153
	s_branch .LBB1_154
.LBB1_281:                              ;   in Loop: Header=BB1_130 Depth=1
	v_cmp_eq_u16_e32 vcc, s23, v132
	s_mov_b64 s[2:3], -1
                                        ; implicit-def: $sgpr16
	s_and_saveexec_b64 s[18:19], vcc
; %bb.282:                              ;   in Loop: Header=BB1_130 Depth=1
	s_movk_i32 s16, 0x7c01
	s_xor_b64 s[2:3], exec, -1
; %bb.283:                              ;   in Loop: Header=BB1_130 Depth=1
	s_or_b64 exec, exec, s[18:19]
	s_and_b64 s[2:3], s[2:3], exec
                                        ; implicit-def: $vgpr132
	s_or_saveexec_b64 s[14:15], s[14:15]
	v_mov_b32_e32 v152, s16
	s_xor_b64 exec, exec, s[14:15]
	s_cbranch_execz .LBB1_156
.LBB1_284:                              ;   in Loop: Header=BB1_130 Depth=1
	v_cmp_ne_u16_e32 vcc, 0, v132
	s_andn2_b64 s[2:3], s[2:3], exec
	s_and_b64 s[18:19], vcc, exec
	v_mov_b32_e32 v152, 0
	s_or_b64 s[2:3], s[2:3], s[18:19]
	s_or_b64 exec, exec, s[14:15]
	s_and_saveexec_b64 s[14:15], s[2:3]
	s_cbranch_execnz .LBB1_157
	s_branch .LBB1_158
.LBB1_285:                              ;   in Loop: Header=BB1_130 Depth=1
	v_cmp_eq_u16_sdwa s[30:31], v131, s23 src0_sel:BYTE_3 src1_sel:DWORD
	s_mov_b64 s[2:3], -1
                                        ; implicit-def: $sgpr16
	s_and_saveexec_b64 s[18:19], s[30:31]
; %bb.286:                              ;   in Loop: Header=BB1_130 Depth=1
	s_movk_i32 s16, 0x7c01
	s_xor_b64 s[2:3], exec, -1
; %bb.287:                              ;   in Loop: Header=BB1_130 Depth=1
	s_or_b64 exec, exec, s[18:19]
	s_and_b64 s[2:3], s[2:3], exec
	s_or_saveexec_b64 s[14:15], s[14:15]
	v_mov_b32_e32 v153, s16
	s_xor_b64 exec, exec, s[14:15]
	s_cbranch_execz .LBB1_160
.LBB1_288:                              ;   in Loop: Header=BB1_130 Depth=1
	v_cmp_ne_u16_sdwa s[18:19], v131, v141 src0_sel:BYTE_3 src1_sel:DWORD
	s_andn2_b64 s[2:3], s[2:3], exec
	s_and_b64 s[18:19], s[18:19], exec
	v_mov_b32_e32 v153, 0
	s_or_b64 s[2:3], s[2:3], s[18:19]
	s_or_b64 exec, exec, s[14:15]
	s_and_saveexec_b64 s[14:15], s[2:3]
	s_cbranch_execnz .LBB1_161
	s_branch .LBB1_162
.LBB1_289:                              ;   in Loop: Header=BB1_130 Depth=1
	v_cmp_eq_u16_e32 vcc, s23, v132
	s_mov_b64 s[2:3], -1
                                        ; implicit-def: $sgpr16
	s_and_saveexec_b64 s[18:19], vcc
; %bb.290:                              ;   in Loop: Header=BB1_130 Depth=1
	s_movk_i32 s16, 0x7c01
	s_xor_b64 s[2:3], exec, -1
; %bb.291:                              ;   in Loop: Header=BB1_130 Depth=1
	s_or_b64 exec, exec, s[18:19]
	s_and_b64 s[2:3], s[2:3], exec
                                        ; implicit-def: $vgpr132
	s_or_saveexec_b64 s[14:15], s[14:15]
	v_mov_b32_e32 v154, s16
	s_xor_b64 exec, exec, s[14:15]
	s_cbranch_execz .LBB1_164
.LBB1_292:                              ;   in Loop: Header=BB1_130 Depth=1
	v_cmp_ne_u16_e32 vcc, 0, v132
	s_andn2_b64 s[2:3], s[2:3], exec
	s_and_b64 s[18:19], vcc, exec
	s_or_b64 s[2:3], s[2:3], s[18:19]
	v_mov_b32_e32 v154, v132
	s_or_b64 exec, exec, s[14:15]
	s_and_saveexec_b64 s[14:15], s[2:3]
	s_cbranch_execnz .LBB1_165
	s_branch .LBB1_166
.LBB1_293:                              ;   in Loop: Header=BB1_130 Depth=1
	v_cmp_eq_u16_sdwa s[30:31], v132, s23 src0_sel:BYTE_0 src1_sel:DWORD
	s_mov_b64 s[2:3], -1
                                        ; implicit-def: $sgpr16
	s_and_saveexec_b64 s[18:19], s[30:31]
; %bb.294:                              ;   in Loop: Header=BB1_130 Depth=1
	s_movk_i32 s16, 0x7c01
	s_xor_b64 s[2:3], exec, -1
; %bb.295:                              ;   in Loop: Header=BB1_130 Depth=1
	s_or_b64 exec, exec, s[18:19]
	s_and_b64 s[2:3], s[2:3], exec
	s_or_saveexec_b64 s[14:15], s[14:15]
	v_mov_b32_e32 v155, s16
	s_xor_b64 exec, exec, s[14:15]
	s_cbranch_execz .LBB1_168
.LBB1_296:                              ;   in Loop: Header=BB1_130 Depth=1
	v_cmp_ne_u16_sdwa s[18:19], v132, v141 src0_sel:BYTE_0 src1_sel:DWORD
	s_andn2_b64 s[2:3], s[2:3], exec
	s_and_b64 s[18:19], s[18:19], exec
	v_mov_b32_e32 v155, 0
	s_or_b64 s[2:3], s[2:3], s[18:19]
	s_or_b64 exec, exec, s[14:15]
	s_and_saveexec_b64 s[14:15], s[2:3]
	s_cbranch_execnz .LBB1_169
	s_branch .LBB1_170
.LBB1_297:                              ;   in Loop: Header=BB1_130 Depth=1
	v_cmp_eq_u16_e32 vcc, s23, v133
	s_mov_b64 s[2:3], -1
                                        ; implicit-def: $sgpr16
	s_and_saveexec_b64 s[18:19], vcc
; %bb.298:                              ;   in Loop: Header=BB1_130 Depth=1
	s_movk_i32 s16, 0x7c01
	s_xor_b64 s[2:3], exec, -1
; %bb.299:                              ;   in Loop: Header=BB1_130 Depth=1
	s_or_b64 exec, exec, s[18:19]
	s_and_b64 s[2:3], s[2:3], exec
                                        ; implicit-def: $vgpr133
	s_or_saveexec_b64 s[14:15], s[14:15]
	v_mov_b32_e32 v156, s16
	s_xor_b64 exec, exec, s[14:15]
	s_cbranch_execz .LBB1_172
.LBB1_300:                              ;   in Loop: Header=BB1_130 Depth=1
	v_cmp_ne_u16_e32 vcc, 0, v133
	s_andn2_b64 s[2:3], s[2:3], exec
	s_and_b64 s[18:19], vcc, exec
	v_mov_b32_e32 v156, 0
	s_or_b64 s[2:3], s[2:3], s[18:19]
	s_or_b64 exec, exec, s[14:15]
	s_and_saveexec_b64 s[14:15], s[2:3]
	s_cbranch_execnz .LBB1_173
	s_branch .LBB1_174
.LBB1_301:                              ;   in Loop: Header=BB1_130 Depth=1
	v_cmp_eq_u16_sdwa s[30:31], v130, s23 src0_sel:BYTE_3 src1_sel:DWORD
	s_mov_b64 s[2:3], -1
                                        ; implicit-def: $sgpr16
	s_and_saveexec_b64 s[18:19], s[30:31]
; %bb.302:                              ;   in Loop: Header=BB1_130 Depth=1
	s_movk_i32 s16, 0x7c01
	s_xor_b64 s[2:3], exec, -1
; %bb.303:                              ;   in Loop: Header=BB1_130 Depth=1
	s_or_b64 exec, exec, s[18:19]
	s_and_b64 s[2:3], s[2:3], exec
	s_or_saveexec_b64 s[14:15], s[14:15]
	v_mov_b32_e32 v157, s16
	s_xor_b64 exec, exec, s[14:15]
	s_cbranch_execz .LBB1_176
.LBB1_304:                              ;   in Loop: Header=BB1_130 Depth=1
	v_cmp_ne_u16_sdwa s[18:19], v130, v141 src0_sel:BYTE_3 src1_sel:DWORD
	s_andn2_b64 s[2:3], s[2:3], exec
	s_and_b64 s[18:19], s[18:19], exec
	v_mov_b32_e32 v157, 0
	s_or_b64 s[2:3], s[2:3], s[18:19]
	s_or_b64 exec, exec, s[14:15]
	s_and_saveexec_b64 s[14:15], s[2:3]
	s_cbranch_execnz .LBB1_177
	s_branch .LBB1_178
.LBB1_305:                              ;   in Loop: Header=BB1_130 Depth=1
	v_cmp_eq_u16_sdwa s[30:31], v131, s23 src0_sel:BYTE_0 src1_sel:DWORD
	s_mov_b64 s[2:3], -1
                                        ; implicit-def: $sgpr16
	s_and_saveexec_b64 s[18:19], s[30:31]
; %bb.306:                              ;   in Loop: Header=BB1_130 Depth=1
	s_movk_i32 s16, 0x7c01
	s_xor_b64 s[2:3], exec, -1
; %bb.307:                              ;   in Loop: Header=BB1_130 Depth=1
	s_or_b64 exec, exec, s[18:19]
	s_and_b64 s[2:3], s[2:3], exec
	s_or_saveexec_b64 s[14:15], s[14:15]
	v_mov_b32_e32 v158, s16
	s_xor_b64 exec, exec, s[14:15]
	s_cbranch_execz .LBB1_180
.LBB1_308:                              ;   in Loop: Header=BB1_130 Depth=1
	v_cmp_ne_u16_sdwa s[18:19], v131, v141 src0_sel:BYTE_0 src1_sel:DWORD
	s_andn2_b64 s[2:3], s[2:3], exec
	s_and_b64 s[18:19], s[18:19], exec
	v_mov_b32_e32 v158, 0
	s_or_b64 s[2:3], s[2:3], s[18:19]
	s_or_b64 exec, exec, s[14:15]
	s_and_saveexec_b64 s[14:15], s[2:3]
	s_cbranch_execnz .LBB1_181
	s_branch .LBB1_182
.LBB1_309:                              ;   in Loop: Header=BB1_130 Depth=1
	v_cmp_eq_u16_sdwa s[30:31], v130, s23 src0_sel:BYTE_0 src1_sel:DWORD
	s_mov_b64 s[2:3], -1
                                        ; implicit-def: $sgpr16
	s_and_saveexec_b64 s[18:19], s[30:31]
; %bb.310:                              ;   in Loop: Header=BB1_130 Depth=1
	s_movk_i32 s16, 0x7c01
	s_xor_b64 s[2:3], exec, -1
; %bb.311:                              ;   in Loop: Header=BB1_130 Depth=1
	s_or_b64 exec, exec, s[18:19]
	s_and_b64 s[2:3], s[2:3], exec
	s_or_saveexec_b64 s[14:15], s[14:15]
	v_mov_b32_e32 v159, s16
	s_xor_b64 exec, exec, s[14:15]
	s_cbranch_execz .LBB1_184
.LBB1_312:                              ;   in Loop: Header=BB1_130 Depth=1
	v_cmp_ne_u16_sdwa s[18:19], v130, v141 src0_sel:BYTE_0 src1_sel:DWORD
	s_andn2_b64 s[2:3], s[2:3], exec
	s_and_b64 s[18:19], s[18:19], exec
	v_mov_b32_e32 v159, 0
	s_or_b64 s[2:3], s[2:3], s[18:19]
	s_or_b64 exec, exec, s[14:15]
	s_and_saveexec_b64 s[14:15], s[2:3]
	s_cbranch_execnz .LBB1_185
	s_branch .LBB1_186
.LBB1_313:                              ;   in Loop: Header=BB1_130 Depth=1
	v_cmp_eq_u16_e32 vcc, s23, v132
	s_mov_b64 s[2:3], -1
                                        ; implicit-def: $sgpr16
	s_and_saveexec_b64 s[18:19], vcc
; %bb.314:                              ;   in Loop: Header=BB1_130 Depth=1
	s_movk_i32 s16, 0x7c01
	s_xor_b64 s[2:3], exec, -1
; %bb.315:                              ;   in Loop: Header=BB1_130 Depth=1
	s_or_b64 exec, exec, s[18:19]
	s_and_b64 s[2:3], s[2:3], exec
                                        ; implicit-def: $vgpr132
	s_or_saveexec_b64 s[14:15], s[14:15]
	v_mov_b32_e32 v160, s16
	s_xor_b64 exec, exec, s[14:15]
	s_cbranch_execz .LBB1_188
.LBB1_316:                              ;   in Loop: Header=BB1_130 Depth=1
	v_cmp_ne_u16_e32 vcc, 0, v132
	s_andn2_b64 s[2:3], s[2:3], exec
	s_and_b64 s[18:19], vcc, exec
	v_mov_b32_e32 v160, 0
	s_or_b64 s[2:3], s[2:3], s[18:19]
	s_or_b64 exec, exec, s[14:15]
	s_and_saveexec_b64 s[14:15], s[2:3]
	s_cbranch_execnz .LBB1_189
	s_branch .LBB1_190
.LBB1_317:                              ;   in Loop: Header=BB1_130 Depth=1
	v_cmp_eq_u16_sdwa s[30:31], v131, s23 src0_sel:BYTE_3 src1_sel:DWORD
	s_mov_b64 s[2:3], -1
                                        ; implicit-def: $sgpr16
	s_and_saveexec_b64 s[18:19], s[30:31]
; %bb.318:                              ;   in Loop: Header=BB1_130 Depth=1
	s_movk_i32 s16, 0x7c01
	s_xor_b64 s[2:3], exec, -1
; %bb.319:                              ;   in Loop: Header=BB1_130 Depth=1
	s_or_b64 exec, exec, s[18:19]
	s_and_b64 s[2:3], s[2:3], exec
	s_or_saveexec_b64 s[14:15], s[14:15]
	v_mov_b32_e32 v161, s16
	s_xor_b64 exec, exec, s[14:15]
	s_cbranch_execz .LBB1_192
.LBB1_320:                              ;   in Loop: Header=BB1_130 Depth=1
	v_cmp_ne_u16_sdwa s[18:19], v131, v141 src0_sel:BYTE_3 src1_sel:DWORD
	s_andn2_b64 s[2:3], s[2:3], exec
	s_and_b64 s[18:19], s[18:19], exec
	v_mov_b32_e32 v161, 0
	s_or_b64 s[2:3], s[2:3], s[18:19]
	s_or_b64 exec, exec, s[14:15]
	s_and_saveexec_b64 s[14:15], s[2:3]
	s_cbranch_execnz .LBB1_193
	s_branch .LBB1_194
.LBB1_321:                              ;   in Loop: Header=BB1_130 Depth=1
	v_cmp_eq_u16_e32 vcc, s23, v132
	s_mov_b64 s[2:3], -1
                                        ; implicit-def: $sgpr16
	s_and_saveexec_b64 s[18:19], vcc
; %bb.322:                              ;   in Loop: Header=BB1_130 Depth=1
	s_movk_i32 s16, 0x7c01
	s_xor_b64 s[2:3], exec, -1
; %bb.323:                              ;   in Loop: Header=BB1_130 Depth=1
	s_or_b64 exec, exec, s[18:19]
	s_and_b64 s[2:3], s[2:3], exec
                                        ; implicit-def: $vgpr132
	s_or_saveexec_b64 s[14:15], s[14:15]
	v_mov_b32_e32 v162, s16
	s_xor_b64 exec, exec, s[14:15]
	s_cbranch_execz .LBB1_196
.LBB1_324:                              ;   in Loop: Header=BB1_130 Depth=1
	v_cmp_ne_u16_e32 vcc, 0, v132
	s_andn2_b64 s[2:3], s[2:3], exec
	s_and_b64 s[18:19], vcc, exec
	s_or_b64 s[2:3], s[2:3], s[18:19]
	v_mov_b32_e32 v162, v132
	s_or_b64 exec, exec, s[14:15]
	s_and_saveexec_b64 s[14:15], s[2:3]
	s_cbranch_execnz .LBB1_197
	s_branch .LBB1_198
.LBB1_325:                              ;   in Loop: Header=BB1_130 Depth=1
	v_cmp_eq_u16_sdwa s[30:31], v132, s23 src0_sel:BYTE_0 src1_sel:DWORD
	s_mov_b64 s[2:3], -1
                                        ; implicit-def: $sgpr16
	s_and_saveexec_b64 s[18:19], s[30:31]
; %bb.326:                              ;   in Loop: Header=BB1_130 Depth=1
	s_movk_i32 s16, 0x7c01
	s_xor_b64 s[2:3], exec, -1
; %bb.327:                              ;   in Loop: Header=BB1_130 Depth=1
	s_or_b64 exec, exec, s[18:19]
	s_and_b64 s[2:3], s[2:3], exec
	s_or_saveexec_b64 s[14:15], s[14:15]
	v_mov_b32_e32 v163, s16
	s_xor_b64 exec, exec, s[14:15]
	s_cbranch_execz .LBB1_200
.LBB1_328:                              ;   in Loop: Header=BB1_130 Depth=1
	v_cmp_ne_u16_sdwa s[18:19], v132, v141 src0_sel:BYTE_0 src1_sel:DWORD
	s_andn2_b64 s[2:3], s[2:3], exec
	s_and_b64 s[18:19], s[18:19], exec
	v_mov_b32_e32 v163, 0
	s_or_b64 s[2:3], s[2:3], s[18:19]
	s_or_b64 exec, exec, s[14:15]
	s_and_saveexec_b64 s[14:15], s[2:3]
	s_cbranch_execnz .LBB1_201
	s_branch .LBB1_202
.LBB1_329:                              ;   in Loop: Header=BB1_130 Depth=1
	v_cmp_eq_u16_e32 vcc, s23, v133
	s_mov_b64 s[2:3], -1
                                        ; implicit-def: $sgpr16
	s_and_saveexec_b64 s[18:19], vcc
; %bb.330:                              ;   in Loop: Header=BB1_130 Depth=1
	s_movk_i32 s16, 0x7c01
	s_xor_b64 s[2:3], exec, -1
; %bb.331:                              ;   in Loop: Header=BB1_130 Depth=1
	s_or_b64 exec, exec, s[18:19]
	s_and_b64 s[2:3], s[2:3], exec
                                        ; implicit-def: $vgpr133
	s_or_saveexec_b64 s[14:15], s[14:15]
	v_mov_b32_e32 v164, s16
	s_xor_b64 exec, exec, s[14:15]
	s_cbranch_execz .LBB1_204
.LBB1_332:                              ;   in Loop: Header=BB1_130 Depth=1
	v_cmp_ne_u16_e32 vcc, 0, v133
	s_andn2_b64 s[2:3], s[2:3], exec
	s_and_b64 s[18:19], vcc, exec
	v_mov_b32_e32 v164, 0
	s_or_b64 s[2:3], s[2:3], s[18:19]
	s_or_b64 exec, exec, s[14:15]
	s_and_saveexec_b64 s[14:15], s[2:3]
	s_cbranch_execnz .LBB1_205
	s_branch .LBB1_206
.LBB1_333:                              ;   in Loop: Header=BB1_130 Depth=1
	v_cmp_eq_u16_sdwa s[30:31], v130, s23 src0_sel:BYTE_3 src1_sel:DWORD
	s_mov_b64 s[2:3], -1
                                        ; implicit-def: $sgpr16
	s_and_saveexec_b64 s[18:19], s[30:31]
; %bb.334:                              ;   in Loop: Header=BB1_130 Depth=1
	s_movk_i32 s16, 0x7c01
	s_xor_b64 s[2:3], exec, -1
; %bb.335:                              ;   in Loop: Header=BB1_130 Depth=1
	s_or_b64 exec, exec, s[18:19]
	s_and_b64 s[2:3], s[2:3], exec
	s_or_saveexec_b64 s[14:15], s[14:15]
	v_mov_b32_e32 v165, s16
	s_xor_b64 exec, exec, s[14:15]
	s_cbranch_execz .LBB1_208
.LBB1_336:                              ;   in Loop: Header=BB1_130 Depth=1
	v_cmp_ne_u16_sdwa s[18:19], v130, v141 src0_sel:BYTE_3 src1_sel:DWORD
	s_andn2_b64 s[2:3], s[2:3], exec
	s_and_b64 s[18:19], s[18:19], exec
	v_mov_b32_e32 v165, 0
	s_or_b64 s[2:3], s[2:3], s[18:19]
	s_or_b64 exec, exec, s[14:15]
	s_and_saveexec_b64 s[14:15], s[2:3]
	s_cbranch_execnz .LBB1_209
	s_branch .LBB1_210
.LBB1_337:                              ;   in Loop: Header=BB1_130 Depth=1
	v_cmp_eq_u16_sdwa s[30:31], v131, s23 src0_sel:BYTE_0 src1_sel:DWORD
	s_mov_b64 s[2:3], -1
                                        ; implicit-def: $sgpr16
	s_and_saveexec_b64 s[18:19], s[30:31]
; %bb.338:                              ;   in Loop: Header=BB1_130 Depth=1
	s_movk_i32 s16, 0x7c01
	s_xor_b64 s[2:3], exec, -1
; %bb.339:                              ;   in Loop: Header=BB1_130 Depth=1
	s_or_b64 exec, exec, s[18:19]
	s_and_b64 s[2:3], s[2:3], exec
	s_or_saveexec_b64 s[14:15], s[14:15]
	v_mov_b32_e32 v166, s16
	s_xor_b64 exec, exec, s[14:15]
	s_cbranch_execz .LBB1_212
.LBB1_340:                              ;   in Loop: Header=BB1_130 Depth=1
	v_cmp_ne_u16_sdwa s[18:19], v131, v141 src0_sel:BYTE_0 src1_sel:DWORD
	s_andn2_b64 s[2:3], s[2:3], exec
	s_and_b64 s[18:19], s[18:19], exec
	v_mov_b32_e32 v166, 0
	s_or_b64 s[2:3], s[2:3], s[18:19]
	s_or_b64 exec, exec, s[14:15]
	s_and_saveexec_b64 s[14:15], s[2:3]
	s_cbranch_execnz .LBB1_213
	s_branch .LBB1_214
.LBB1_341:                              ;   in Loop: Header=BB1_130 Depth=1
	v_cmp_eq_u16_sdwa s[30:31], v130, s23 src0_sel:BYTE_0 src1_sel:DWORD
	s_mov_b64 s[2:3], -1
                                        ; implicit-def: $sgpr16
	s_and_saveexec_b64 s[18:19], s[30:31]
; %bb.342:                              ;   in Loop: Header=BB1_130 Depth=1
	s_movk_i32 s16, 0x7c01
	s_xor_b64 s[2:3], exec, -1
; %bb.343:                              ;   in Loop: Header=BB1_130 Depth=1
	s_or_b64 exec, exec, s[18:19]
	s_and_b64 s[2:3], s[2:3], exec
	s_or_saveexec_b64 s[14:15], s[14:15]
	v_mov_b32_e32 v167, s16
	s_xor_b64 exec, exec, s[14:15]
	s_cbranch_execz .LBB1_216
.LBB1_344:                              ;   in Loop: Header=BB1_130 Depth=1
	v_cmp_ne_u16_sdwa s[18:19], v130, v141 src0_sel:BYTE_0 src1_sel:DWORD
	s_andn2_b64 s[2:3], s[2:3], exec
	s_and_b64 s[18:19], s[18:19], exec
	v_mov_b32_e32 v167, 0
	s_or_b64 s[2:3], s[2:3], s[18:19]
	s_or_b64 exec, exec, s[14:15]
	s_and_saveexec_b64 s[14:15], s[2:3]
	s_cbranch_execnz .LBB1_217
	s_branch .LBB1_218
.LBB1_345:                              ;   in Loop: Header=BB1_130 Depth=1
	v_cmp_eq_u16_e32 vcc, s23, v132
	s_mov_b64 s[2:3], -1
                                        ; implicit-def: $sgpr16
	s_and_saveexec_b64 s[18:19], vcc
; %bb.346:                              ;   in Loop: Header=BB1_130 Depth=1
	s_movk_i32 s16, 0x7c01
	s_xor_b64 s[2:3], exec, -1
; %bb.347:                              ;   in Loop: Header=BB1_130 Depth=1
	s_or_b64 exec, exec, s[18:19]
	s_and_b64 s[2:3], s[2:3], exec
                                        ; implicit-def: $vgpr132
	s_or_saveexec_b64 s[14:15], s[14:15]
	v_mov_b32_e32 v168, s16
	s_xor_b64 exec, exec, s[14:15]
	s_cbranch_execz .LBB1_220
.LBB1_348:                              ;   in Loop: Header=BB1_130 Depth=1
	v_cmp_ne_u16_e32 vcc, 0, v132
	s_andn2_b64 s[2:3], s[2:3], exec
	s_and_b64 s[18:19], vcc, exec
	v_mov_b32_e32 v168, 0
	s_or_b64 s[2:3], s[2:3], s[18:19]
	s_or_b64 exec, exec, s[14:15]
	s_and_saveexec_b64 s[14:15], s[2:3]
	s_cbranch_execnz .LBB1_221
	s_branch .LBB1_222
.LBB1_349:                              ;   in Loop: Header=BB1_130 Depth=1
	v_cmp_eq_u16_sdwa s[30:31], v131, s23 src0_sel:BYTE_3 src1_sel:DWORD
	s_mov_b64 s[2:3], -1
                                        ; implicit-def: $sgpr16
	s_and_saveexec_b64 s[18:19], s[30:31]
; %bb.350:                              ;   in Loop: Header=BB1_130 Depth=1
	s_movk_i32 s16, 0x7c01
	s_xor_b64 s[2:3], exec, -1
; %bb.351:                              ;   in Loop: Header=BB1_130 Depth=1
	s_or_b64 exec, exec, s[18:19]
	s_and_b64 s[2:3], s[2:3], exec
	s_or_saveexec_b64 s[14:15], s[14:15]
	v_mov_b32_e32 v169, s16
	s_xor_b64 exec, exec, s[14:15]
	s_cbranch_execz .LBB1_224
.LBB1_352:                              ;   in Loop: Header=BB1_130 Depth=1
	v_cmp_ne_u16_sdwa s[18:19], v131, v141 src0_sel:BYTE_3 src1_sel:DWORD
	s_andn2_b64 s[2:3], s[2:3], exec
	s_and_b64 s[18:19], s[18:19], exec
	v_mov_b32_e32 v169, 0
	s_or_b64 s[2:3], s[2:3], s[18:19]
	s_or_b64 exec, exec, s[14:15]
	s_and_saveexec_b64 s[14:15], s[2:3]
	s_cbranch_execnz .LBB1_225
	s_branch .LBB1_226
.LBB1_353:                              ;   in Loop: Header=BB1_130 Depth=1
	v_cmp_eq_u16_e32 vcc, s23, v132
	s_mov_b64 s[2:3], -1
                                        ; implicit-def: $sgpr16
	s_and_saveexec_b64 s[18:19], vcc
; %bb.354:                              ;   in Loop: Header=BB1_130 Depth=1
	s_movk_i32 s16, 0x7c01
	s_xor_b64 s[2:3], exec, -1
; %bb.355:                              ;   in Loop: Header=BB1_130 Depth=1
	s_or_b64 exec, exec, s[18:19]
	s_and_b64 s[2:3], s[2:3], exec
                                        ; implicit-def: $vgpr132
	s_or_saveexec_b64 s[14:15], s[14:15]
	v_mov_b32_e32 v171, s16
	s_xor_b64 exec, exec, s[14:15]
	s_cbranch_execz .LBB1_228
.LBB1_356:                              ;   in Loop: Header=BB1_130 Depth=1
	v_cmp_ne_u16_e32 vcc, 0, v132
	s_andn2_b64 s[2:3], s[2:3], exec
	s_and_b64 s[18:19], vcc, exec
	s_or_b64 s[2:3], s[2:3], s[18:19]
	v_mov_b32_e32 v171, v132
	s_or_b64 exec, exec, s[14:15]
	s_and_saveexec_b64 s[14:15], s[2:3]
	s_cbranch_execnz .LBB1_229
	s_branch .LBB1_230
.LBB1_357:                              ;   in Loop: Header=BB1_130 Depth=1
	v_cmp_eq_u16_sdwa s[30:31], v132, s23 src0_sel:BYTE_0 src1_sel:DWORD
	s_mov_b64 s[2:3], -1
                                        ; implicit-def: $sgpr16
	s_and_saveexec_b64 s[18:19], s[30:31]
; %bb.358:                              ;   in Loop: Header=BB1_130 Depth=1
	s_movk_i32 s16, 0x7c01
	s_xor_b64 s[2:3], exec, -1
; %bb.359:                              ;   in Loop: Header=BB1_130 Depth=1
	s_or_b64 exec, exec, s[18:19]
	s_and_b64 s[2:3], s[2:3], exec
	s_or_saveexec_b64 s[14:15], s[14:15]
	v_mov_b32_e32 v172, s16
	s_xor_b64 exec, exec, s[14:15]
	s_cbranch_execz .LBB1_232
.LBB1_360:                              ;   in Loop: Header=BB1_130 Depth=1
	v_cmp_ne_u16_sdwa s[18:19], v132, v141 src0_sel:BYTE_0 src1_sel:DWORD
	s_andn2_b64 s[2:3], s[2:3], exec
	s_and_b64 s[18:19], s[18:19], exec
	v_mov_b32_e32 v172, 0
	s_or_b64 s[2:3], s[2:3], s[18:19]
	s_or_b64 exec, exec, s[14:15]
	s_and_saveexec_b64 s[14:15], s[2:3]
	s_cbranch_execnz .LBB1_233
	s_branch .LBB1_234
.LBB1_361:                              ;   in Loop: Header=BB1_130 Depth=1
	v_cmp_eq_u16_e32 vcc, s23, v133
	s_mov_b64 s[2:3], -1
                                        ; implicit-def: $sgpr16
	s_and_saveexec_b64 s[18:19], vcc
; %bb.362:                              ;   in Loop: Header=BB1_130 Depth=1
	s_movk_i32 s16, 0x7c01
	s_xor_b64 s[2:3], exec, -1
; %bb.363:                              ;   in Loop: Header=BB1_130 Depth=1
	s_or_b64 exec, exec, s[18:19]
	s_and_b64 s[2:3], s[2:3], exec
                                        ; implicit-def: $vgpr133
	s_or_saveexec_b64 s[14:15], s[14:15]
	v_mov_b32_e32 v173, s16
	s_xor_b64 exec, exec, s[14:15]
	s_cbranch_execz .LBB1_236
.LBB1_364:                              ;   in Loop: Header=BB1_130 Depth=1
	v_cmp_ne_u16_e32 vcc, 0, v133
	s_andn2_b64 s[2:3], s[2:3], exec
	s_and_b64 s[18:19], vcc, exec
	v_mov_b32_e32 v173, 0
	s_or_b64 s[2:3], s[2:3], s[18:19]
	s_or_b64 exec, exec, s[14:15]
	s_and_saveexec_b64 s[14:15], s[2:3]
	s_cbranch_execnz .LBB1_237
	s_branch .LBB1_238
.LBB1_365:                              ;   in Loop: Header=BB1_130 Depth=1
	v_cmp_eq_u16_sdwa s[30:31], v130, s23 src0_sel:BYTE_3 src1_sel:DWORD
	s_mov_b64 s[2:3], -1
                                        ; implicit-def: $sgpr16
	s_and_saveexec_b64 s[18:19], s[30:31]
; %bb.366:                              ;   in Loop: Header=BB1_130 Depth=1
	s_movk_i32 s16, 0x7c01
	s_xor_b64 s[2:3], exec, -1
; %bb.367:                              ;   in Loop: Header=BB1_130 Depth=1
	s_or_b64 exec, exec, s[18:19]
	s_and_b64 s[2:3], s[2:3], exec
	s_or_saveexec_b64 s[14:15], s[14:15]
	v_mov_b32_e32 v174, s16
	s_xor_b64 exec, exec, s[14:15]
	s_cbranch_execz .LBB1_240
.LBB1_368:                              ;   in Loop: Header=BB1_130 Depth=1
	v_cmp_ne_u16_sdwa s[18:19], v130, v141 src0_sel:BYTE_3 src1_sel:DWORD
	s_andn2_b64 s[2:3], s[2:3], exec
	s_and_b64 s[18:19], s[18:19], exec
	v_mov_b32_e32 v174, 0
	s_or_b64 s[2:3], s[2:3], s[18:19]
	s_or_b64 exec, exec, s[14:15]
	s_and_saveexec_b64 s[14:15], s[2:3]
	s_cbranch_execnz .LBB1_241
	s_branch .LBB1_242
.LBB1_369:                              ;   in Loop: Header=BB1_130 Depth=1
	v_cmp_eq_u16_sdwa s[30:31], v131, s23 src0_sel:BYTE_0 src1_sel:DWORD
	s_mov_b64 s[2:3], -1
                                        ; implicit-def: $sgpr16
	s_and_saveexec_b64 s[18:19], s[30:31]
; %bb.370:                              ;   in Loop: Header=BB1_130 Depth=1
	s_movk_i32 s16, 0x7c01
	s_xor_b64 s[2:3], exec, -1
; %bb.371:                              ;   in Loop: Header=BB1_130 Depth=1
	s_or_b64 exec, exec, s[18:19]
	s_and_b64 s[2:3], s[2:3], exec
	s_or_saveexec_b64 s[14:15], s[14:15]
	v_mov_b32_e32 v175, s16
	s_xor_b64 exec, exec, s[14:15]
	s_cbranch_execz .LBB1_244
.LBB1_372:                              ;   in Loop: Header=BB1_130 Depth=1
	v_cmp_ne_u16_sdwa s[18:19], v131, v141 src0_sel:BYTE_0 src1_sel:DWORD
	s_andn2_b64 s[2:3], s[2:3], exec
	s_and_b64 s[18:19], s[18:19], exec
	v_mov_b32_e32 v175, 0
	s_or_b64 s[2:3], s[2:3], s[18:19]
	s_or_b64 exec, exec, s[14:15]
	s_and_saveexec_b64 s[14:15], s[2:3]
	s_cbranch_execnz .LBB1_245
	s_branch .LBB1_246
.LBB1_373:                              ;   in Loop: Header=BB1_130 Depth=1
	v_cmp_eq_u16_sdwa s[30:31], v130, s23 src0_sel:BYTE_0 src1_sel:DWORD
	s_mov_b64 s[2:3], -1
                                        ; implicit-def: $sgpr16
	s_and_saveexec_b64 s[18:19], s[30:31]
; %bb.374:                              ;   in Loop: Header=BB1_130 Depth=1
	s_movk_i32 s16, 0x7c01
	s_xor_b64 s[2:3], exec, -1
; %bb.375:                              ;   in Loop: Header=BB1_130 Depth=1
	s_or_b64 exec, exec, s[18:19]
	s_and_b64 s[2:3], s[2:3], exec
	s_or_saveexec_b64 s[14:15], s[14:15]
	v_mov_b32_e32 v176, s16
	s_xor_b64 exec, exec, s[14:15]
	s_cbranch_execz .LBB1_248
.LBB1_376:                              ;   in Loop: Header=BB1_130 Depth=1
	v_cmp_ne_u16_sdwa s[18:19], v130, v141 src0_sel:BYTE_0 src1_sel:DWORD
	s_andn2_b64 s[2:3], s[2:3], exec
	s_and_b64 s[18:19], s[18:19], exec
	v_mov_b32_e32 v176, 0
	s_or_b64 s[2:3], s[2:3], s[18:19]
	s_or_b64 exec, exec, s[14:15]
	s_and_saveexec_b64 s[14:15], s[2:3]
	s_cbranch_execnz .LBB1_249
	s_branch .LBB1_250
.LBB1_377:                              ;   in Loop: Header=BB1_130 Depth=1
	v_cmp_eq_u16_e32 vcc, s23, v132
	s_mov_b64 s[2:3], -1
                                        ; implicit-def: $sgpr16
	s_and_saveexec_b64 s[18:19], vcc
; %bb.378:                              ;   in Loop: Header=BB1_130 Depth=1
	s_movk_i32 s16, 0x7c01
	s_xor_b64 s[2:3], exec, -1
; %bb.379:                              ;   in Loop: Header=BB1_130 Depth=1
	s_or_b64 exec, exec, s[18:19]
	s_and_b64 s[2:3], s[2:3], exec
                                        ; implicit-def: $vgpr132
	s_or_saveexec_b64 s[14:15], s[14:15]
	v_mov_b32_e32 v177, s16
	s_xor_b64 exec, exec, s[14:15]
	s_cbranch_execz .LBB1_252
.LBB1_380:                              ;   in Loop: Header=BB1_130 Depth=1
	v_cmp_ne_u16_e32 vcc, 0, v132
	s_andn2_b64 s[2:3], s[2:3], exec
	s_and_b64 s[18:19], vcc, exec
	v_mov_b32_e32 v177, 0
	s_or_b64 s[2:3], s[2:3], s[18:19]
	s_or_b64 exec, exec, s[14:15]
	s_and_saveexec_b64 s[14:15], s[2:3]
	s_cbranch_execnz .LBB1_253
	s_branch .LBB1_254
.LBB1_381:                              ;   in Loop: Header=BB1_130 Depth=1
	v_cmp_eq_u16_sdwa s[30:31], v131, s23 src0_sel:BYTE_3 src1_sel:DWORD
	s_mov_b64 s[2:3], -1
                                        ; implicit-def: $sgpr16
	s_and_saveexec_b64 s[18:19], s[30:31]
; %bb.382:                              ;   in Loop: Header=BB1_130 Depth=1
	s_movk_i32 s16, 0x7c01
	s_xor_b64 s[2:3], exec, -1
; %bb.383:                              ;   in Loop: Header=BB1_130 Depth=1
	s_or_b64 exec, exec, s[18:19]
	s_and_b64 s[2:3], s[2:3], exec
	s_or_saveexec_b64 s[14:15], s[14:15]
	v_mov_b32_e32 v178, s16
	s_xor_b64 exec, exec, s[14:15]
	s_cbranch_execz .LBB1_256
.LBB1_384:                              ;   in Loop: Header=BB1_130 Depth=1
	v_cmp_ne_u16_sdwa s[18:19], v131, v141 src0_sel:BYTE_3 src1_sel:DWORD
	s_andn2_b64 s[2:3], s[2:3], exec
	s_and_b64 s[18:19], s[18:19], exec
	v_mov_b32_e32 v178, 0
	s_or_b64 s[2:3], s[2:3], s[18:19]
	s_or_b64 exec, exec, s[14:15]
	s_and_saveexec_b64 s[14:15], s[2:3]
	s_cbranch_execz .LBB1_129
.LBB1_385:                              ;   in Loop: Header=BB1_130 Depth=1
	v_bfe_u32 v130, v131, 24, 3
	v_ffbh_u32_e32 v178, v130
	v_min_u32_e32 v178, 32, v178
	v_lshrrev_b32_e32 v132, 27, v131
	v_subrev_u32_e32 v179, 28, v178
	v_and_b32_e32 v132, 15, v132
	v_lshlrev_b32_sdwa v179, v179, v131 dst_sel:DWORD dst_unused:UNUSED_PAD src0_sel:DWORD src1_sel:BYTE_3
	v_bfe_u32 v133, v131, 27, 4
	v_sub_u32_e32 v178, 29, v178
	v_and_b32_e32 v179, 7, v179
	v_cmp_eq_u16_e32 vcc, 0, v132
	v_cndmask_b32_e32 v130, v130, v179, vcc
	v_cndmask_b32_e32 v132, v133, v178, vcc
	v_lshlrev_b32_e32 v130, 7, v130
	v_and_b32_sdwa v131, v131, s27 dst_sel:DWORD dst_unused:UNUSED_PAD src0_sel:WORD_1 src1_sel:DWORD
	v_lshl_add_u32 v132, v132, 10, v143
	v_or3_b32 v178, v131, v132, v130
	s_branch .LBB1_129
.LBB1_386:
	s_waitcnt lgkmcnt(0)
	s_barrier
	ds_read_b128 v[172:175], v142
	ds_read_b128 v[130:133], v138 offset:16432
	ds_read_b128 v[134:137], v138 offset:16944
	;; [unrolled: 1-line block ×3, first 2 shown]
	s_waitcnt lgkmcnt(2)
	v_mfma_f32_16x16x16f16 v[144:147], v[172:173], v[130:131], v[126:129]
	s_mul_i32 s21, s21, s17
	s_mul_hi_u32 s2, s20, s17
	s_add_i32 s4, s2, s21
	v_and_b32_e32 v1, 15, v0
	v_lshrrev_b32_e32 v171, 2, v0
	v_lshlrev_b32_e32 v181, 3, v0
	s_movk_i32 s2, 0x180
	v_mfma_f32_16x16x16f16 v[176:179], v[174:175], v[132:133], v[144:147]
	v_and_b32_e32 v171, 16, v171
	v_and_b32_e32 v180, 0x200, v170
	v_and_or_b32 v1, v181, s2, v1
	v_or3_b32 v1, v1, v180, v171
	v_lshrrev_b32_e32 v180, 3, v0
	v_and_b32_e32 v181, 28, v170
	v_or_b32_e32 v0, s22, v181
	s_waitcnt lgkmcnt(1)
	v_mfma_f32_16x16x16f16 v[122:125], v[172:173], v[134:135], v[122:125]
	v_lshl_or_b32 v170, s0, 8, v180
	v_mad_u64_u32 v[170:171], s[2:3], v170, s17, v[0:1]
	ds_read_b128 v[126:129], v138 offset:17456
	ds_read_b128 v[138:141], v138 offset:17968
	;; [unrolled: 1-line block ×4, first 2 shown]
	v_cvt_f16_f32_e32 v171, v176
	v_lshlrev_b32_e32 v0, 1, v1
	v_cvt_f16_f32_e32 v1, v177
	v_mfma_f32_16x16x16f16 v[122:125], v[174:175], v[136:137], v[122:125]
	v_cvt_f16_f32_e32 v176, v178
	ds_read_b128 v[154:157], v142 offset:2048
	ds_read_b128 v[150:153], v142 offset:2560
	;; [unrolled: 1-line block ×4, first 2 shown]
	s_waitcnt lgkmcnt(0)
	s_barrier
	ds_write_b16 v0, v171
	v_cvt_f16_f32_e32 v171, v179
	v_mfma_f32_16x16x16f16 v[118:121], v[172:173], v[126:127], v[118:121]
	ds_write_b16 v0, v1 offset:64
	ds_write_b16 v0, v176 offset:128
	v_lshlrev_b32_e32 v1, 1, v181
	v_lshl_or_b32 v1, v180, 6, v1
	ds_write_b16 v0, v171 offset:192
	s_waitcnt lgkmcnt(0)
	s_barrier
	ds_read_b64 v[176:177], v1
	v_cvt_f16_f32_e32 v122, v122
	v_mfma_f32_16x16x16f16 v[118:121], v[174:175], v[128:129], v[118:121]
	s_add_i32 s0, s1, s4
	s_lshl_b32 s2, s0, 1
	s_mov_b32 s3, 0x20000
	s_mov_b32 s0, s12
	s_mov_b32 s1, s13
	v_lshlrev_b32_e32 v171, 1, v170
	s_waitcnt lgkmcnt(0)
	buffer_store_dwordx2 v[176:177], v171, s[0:3], 0 offen
	v_mfma_f32_16x16x16f16 v[114:117], v[172:173], v[138:139], v[114:117]
	s_waitcnt lgkmcnt(0)
	s_barrier
	v_cvt_f16_f32_e32 v123, v123
	ds_write_b16 v0, v122
	v_cvt_f16_f32_e32 v122, v124
	v_cvt_f16_f32_e32 v124, v125
	ds_write_b16 v0, v123 offset:64
	ds_write_b16 v0, v122 offset:128
	;; [unrolled: 1-line block ×3, first 2 shown]
	s_waitcnt lgkmcnt(0)
	s_barrier
	ds_read_b64 v[122:123], v1
	v_cvt_f16_f32_e32 v118, v118
	v_mfma_f32_16x16x16f16 v[114:117], v[174:175], v[140:141], v[114:117]
	v_cvt_f16_f32_e32 v119, v119
	s_lshl_b32 s4, s17, 5
	s_waitcnt lgkmcnt(0)
	buffer_store_dwordx2 v[122:123], v171, s[0:3], 0 offen offset:64
	s_waitcnt lgkmcnt(0)
	s_barrier
	ds_write_b16 v0, v118
	v_cvt_f16_f32_e32 v118, v120
	v_mfma_f32_16x16x16f16 v[102:105], v[166:167], v[138:139], v[102:105]
	v_cvt_f16_f32_e32 v120, v121
	ds_write_b16 v0, v119 offset:64
	ds_write_b16 v0, v118 offset:128
	;; [unrolled: 1-line block ×3, first 2 shown]
	s_waitcnt lgkmcnt(0)
	s_barrier
	ds_read_b64 v[118:119], v1
	v_mfma_f32_16x16x16f16 v[98:101], v[166:167], v[126:127], v[98:101]
	v_cvt_f16_f32_e32 v114, v114
	s_waitcnt lgkmcnt(0)
	buffer_store_dwordx2 v[118:119], v171, s[0:3], 0 offen offset:128
	s_waitcnt lgkmcnt(0)
	s_barrier
	ds_write_b16 v0, v114
	v_mfma_f32_16x16x16f16 v[102:105], v[168:169], v[140:141], v[102:105]
	v_cvt_f16_f32_e32 v114, v115
	v_cvt_f16_f32_e32 v115, v116
	;; [unrolled: 1-line block ×3, first 2 shown]
	ds_write_b16 v0, v114 offset:64
	ds_write_b16 v0, v115 offset:128
	;; [unrolled: 1-line block ×3, first 2 shown]
	s_waitcnt lgkmcnt(0)
	s_barrier
	v_mfma_f32_16x16x16f16 v[98:101], v[168:169], v[128:129], v[98:101]
	ds_read_b64 v[114:115], v1
	s_nop 0
	v_cvt_f16_f32_e32 v102, v102
	v_cvt_f16_f32_e32 v103, v103
	v_add_u32_e32 v118, 0x60, v170
	v_cvt_f16_f32_e32 v104, v104
	v_lshlrev_b32_e32 v116, 1, v118
	v_cvt_f16_f32_e32 v105, v105
	v_mfma_f32_16x16x16f16 v[106:109], v[166:167], v[134:135], v[106:109]
	s_waitcnt lgkmcnt(0)
	buffer_store_dwordx2 v[114:115], v116, s[0:3], 0 offen
	s_waitcnt lgkmcnt(0)
	s_barrier
	ds_write_b16 v0, v102
	ds_write_b16 v0, v103 offset:64
	ds_write_b16 v0, v104 offset:128
	;; [unrolled: 1-line block ×3, first 2 shown]
	s_waitcnt lgkmcnt(0)
	s_barrier
	ds_read_b64 v[102:103], v1
	v_cvt_f16_f32_e32 v98, v98
	v_mfma_f32_16x16x16f16 v[106:109], v[168:169], v[136:137], v[106:109]
	v_cvt_f16_f32_e32 v99, v99
	v_cvt_f16_f32_e32 v100, v100
	v_add_lshl_u32 v104, v118, s4, 1
	v_cvt_f16_f32_e32 v101, v101
	s_waitcnt lgkmcnt(0)
	buffer_store_dwordx2 v[102:103], v104, s[0:3], 0 offen
	s_waitcnt lgkmcnt(0)
	s_barrier
	v_mfma_f32_16x16x16f16 v[110:113], v[166:167], v[130:131], v[110:113]
	ds_write_b16 v0, v98
	ds_write_b16 v0, v99 offset:64
	ds_write_b16 v0, v100 offset:128
	;; [unrolled: 1-line block ×3, first 2 shown]
	s_waitcnt lgkmcnt(0)
	s_barrier
	ds_read_b64 v[98:99], v1
	v_subrev_u32_e32 v100, 64, v104
	v_cvt_f16_f32_e32 v101, v109
	s_waitcnt lgkmcnt(0)
	buffer_store_dwordx2 v[98:99], v100, s[0:3], 0 offen
	v_cvt_f16_f32_e32 v98, v106
	v_mfma_f32_16x16x16f16 v[110:113], v[168:169], v[132:133], v[110:113]
	v_cvt_f16_f32_e32 v99, v107
	v_cvt_f16_f32_e32 v100, v108
	s_waitcnt lgkmcnt(0)
	s_barrier
	ds_write_b16 v0, v98
	ds_write_b16 v0, v99 offset:64
	ds_write_b16 v0, v100 offset:128
	;; [unrolled: 1-line block ×3, first 2 shown]
	s_waitcnt lgkmcnt(0)
	s_barrier
	v_mfma_f32_16x16x16f16 v[94:97], v[162:163], v[130:131], v[94:97]
	ds_read_b64 v[98:99], v1
	v_add_u32_e32 v100, 0xffffff80, v104
	s_waitcnt lgkmcnt(0)
	buffer_store_dwordx2 v[98:99], v100, s[0:3], 0 offen
	v_cvt_f16_f32_e32 v98, v110
	v_mfma_f32_16x16x16f16 v[94:97], v[164:165], v[132:133], v[94:97]
	s_waitcnt lgkmcnt(0)
	s_barrier
	v_cvt_f16_f32_e32 v99, v111
	ds_write_b16 v0, v98
	v_cvt_f16_f32_e32 v98, v113
	v_cvt_f16_f32_e32 v100, v112
	ds_write_b16 v0, v99 offset:64
	ds_write_b16 v0, v100 offset:128
	v_mfma_f32_16x16x16f16 v[90:93], v[162:163], v[134:135], v[90:93]
	ds_write_b16 v0, v98 offset:192
	s_waitcnt lgkmcnt(0)
	s_barrier
	ds_read_b64 v[98:99], v1
	v_cvt_f16_f32_e32 v94, v94
	v_add_u32_e32 v100, s4, v170
	v_lshlrev_b32_e32 v101, 1, v100
	v_mfma_f32_16x16x16f16 v[86:89], v[162:163], v[126:127], v[86:89]
	s_waitcnt lgkmcnt(0)
	buffer_store_dwordx2 v[98:99], v101, s[0:3], 0 offen
	s_waitcnt lgkmcnt(0)
	s_barrier
	ds_write_b16 v0, v94
	v_cvt_f16_f32_e32 v94, v95
	v_cvt_f16_f32_e32 v95, v96
	;; [unrolled: 1-line block ×3, first 2 shown]
	v_mfma_f32_16x16x16f16 v[90:93], v[164:165], v[136:137], v[90:93]
	ds_write_b16 v0, v94 offset:64
	ds_write_b16 v0, v95 offset:128
	;; [unrolled: 1-line block ×3, first 2 shown]
	s_waitcnt lgkmcnt(0)
	s_barrier
	ds_read_b64 v[94:95], v1
	v_add_u32_e32 v96, s4, v100
	v_lshlrev_b32_e32 v97, 1, v96
	s_nop 2
	v_cvt_f16_f32_e32 v90, v90
	v_mfma_f32_16x16x16f16 v[82:85], v[162:163], v[138:139], v[82:85]
	v_cvt_f16_f32_e32 v91, v91
	v_cvt_f16_f32_e32 v92, v92
	;; [unrolled: 1-line block ×3, first 2 shown]
	s_waitcnt lgkmcnt(0)
	buffer_store_dwordx2 v[94:95], v97, s[0:3], 0 offen
	s_waitcnt lgkmcnt(0)
	s_barrier
	ds_write_b16 v0, v90
	ds_write_b16 v0, v91 offset:64
	ds_write_b16 v0, v92 offset:128
	;; [unrolled: 1-line block ×3, first 2 shown]
	v_mfma_f32_16x16x16f16 v[86:89], v[164:165], v[128:129], v[86:89]
	s_waitcnt lgkmcnt(0)
	s_barrier
	ds_read_b64 v[90:91], v1
	s_waitcnt lgkmcnt(0)
	buffer_store_dwordx2 v[90:91], v97, s[0:3], 0 offen offset:64
	v_mfma_f32_16x16x16f16 v[66:69], v[158:159], v[138:139], v[66:69]
	s_nop 4
	v_cvt_f16_f32_e32 v86, v86
	v_cvt_f16_f32_e32 v87, v87
	;; [unrolled: 1-line block ×4, first 2 shown]
	s_waitcnt lgkmcnt(0)
	s_barrier
	ds_write_b16 v0, v86
	ds_write_b16 v0, v87 offset:64
	ds_write_b16 v0, v88 offset:128
	ds_write_b16 v0, v89 offset:192
	v_mfma_f32_16x16x16f16 v[82:85], v[164:165], v[140:141], v[82:85]
	s_waitcnt lgkmcnt(0)
	s_barrier
	ds_read_b64 v[86:87], v1
	s_waitcnt lgkmcnt(0)
	buffer_store_dwordx2 v[86:87], v97, s[0:3], 0 offen offset:128
	v_mfma_f32_16x16x16f16 v[66:69], v[160:161], v[140:141], v[66:69]
	s_nop 4
	v_cvt_f16_f32_e32 v82, v82
	v_cvt_f16_f32_e32 v83, v83
	;; [unrolled: 1-line block ×4, first 2 shown]
	s_waitcnt lgkmcnt(0)
	s_barrier
	ds_write_b16 v0, v82
	ds_write_b16 v0, v83 offset:64
	ds_write_b16 v0, v84 offset:128
	;; [unrolled: 1-line block ×3, first 2 shown]
	v_mfma_f32_16x16x16f16 v[70:73], v[158:159], v[126:127], v[70:73]
	s_waitcnt lgkmcnt(0)
	s_barrier
	ds_read_b64 v[82:83], v1
	v_cvt_f16_f32_e32 v66, v66
	v_cvt_f16_f32_e32 v67, v67
	v_add_u32_e32 v84, 0x60, v96
	v_cvt_f16_f32_e32 v68, v68
	v_mfma_f32_16x16x16f16 v[70:73], v[160:161], v[128:129], v[70:73]
	v_lshlrev_b32_e32 v85, 1, v84
	v_cvt_f16_f32_e32 v69, v69
	s_waitcnt lgkmcnt(0)
	buffer_store_dwordx2 v[82:83], v85, s[0:3], 0 offen
	s_waitcnt lgkmcnt(0)
	s_barrier
	ds_write_b16 v0, v66
	ds_write_b16 v0, v67 offset:64
	ds_write_b16 v0, v68 offset:128
	ds_write_b16 v0, v69 offset:192
	s_waitcnt lgkmcnt(0)
	s_barrier
	ds_read_b64 v[66:67], v1
	v_mfma_f32_16x16x16f16 v[74:77], v[158:159], v[134:135], v[74:77]
	v_add_lshl_u32 v68, v84, s4, 1
	v_cvt_f16_f32_e32 v69, v72
	s_waitcnt lgkmcnt(0)
	buffer_store_dwordx2 v[66:67], v68, s[0:3], 0 offen
	v_cvt_f16_f32_e32 v66, v70
	s_waitcnt lgkmcnt(0)
	s_barrier
	v_cvt_f16_f32_e32 v67, v71
	ds_write_b16 v0, v66
	v_cvt_f16_f32_e32 v66, v73
	v_mfma_f32_16x16x16f16 v[74:77], v[160:161], v[136:137], v[74:77]
	ds_write_b16 v0, v67 offset:64
	ds_write_b16 v0, v69 offset:128
	v_subrev_u32_e32 v69, 64, v68
	ds_write_b16 v0, v66 offset:192
	s_waitcnt lgkmcnt(0)
	s_barrier
	ds_read_b64 v[66:67], v1
	v_add_u32_e32 v68, 0xffffff80, v68
	v_mfma_f32_16x16x16f16 v[78:81], v[158:159], v[130:131], v[78:81]
	s_waitcnt lgkmcnt(0)
	buffer_store_dwordx2 v[66:67], v69, s[0:3], 0 offen
	v_cvt_f16_f32_e32 v66, v74
	s_waitcnt lgkmcnt(0)
	s_barrier
	v_cvt_f16_f32_e32 v67, v75
	v_mfma_f32_16x16x16f16 v[62:65], v[154:155], v[130:131], v[62:65]
	ds_write_b16 v0, v66
	v_cvt_f16_f32_e32 v66, v76
	v_cvt_f16_f32_e32 v69, v77
	ds_write_b16 v0, v67 offset:64
	ds_write_b16 v0, v66 offset:128
	;; [unrolled: 1-line block ×3, first 2 shown]
	s_waitcnt lgkmcnt(0)
	v_mfma_f32_16x16x16f16 v[78:81], v[160:161], v[132:133], v[78:81]
	s_barrier
	ds_read_b64 v[66:67], v1
	s_waitcnt lgkmcnt(0)
	buffer_store_dwordx2 v[66:67], v68, s[0:3], 0 offen
	v_mfma_f32_16x16x16f16 v[58:61], v[154:155], v[134:135], v[58:61]
	s_nop 5
	v_cvt_f16_f32_e32 v69, v78
	v_cvt_f16_f32_e32 v66, v79
	;; [unrolled: 1-line block ×4, first 2 shown]
	s_waitcnt lgkmcnt(0)
	s_barrier
	ds_write_b16 v0, v69
	v_mfma_f32_16x16x16f16 v[62:65], v[156:157], v[132:133], v[62:65]
	ds_write_b16 v0, v66 offset:64
	ds_write_b16 v0, v67 offset:128
	;; [unrolled: 1-line block ×3, first 2 shown]
	s_waitcnt lgkmcnt(0)
	s_barrier
	ds_read_b64 v[66:67], v1
	v_add_u32_e32 v68, s4, v96
	v_lshlrev_b32_e32 v69, 1, v68
	s_nop 2
	v_cvt_f16_f32_e32 v62, v62
	v_mfma_f32_16x16x16f16 v[54:57], v[154:155], v[126:127], v[54:57]
	v_cvt_f16_f32_e32 v63, v63
	v_cvt_f16_f32_e32 v64, v64
	;; [unrolled: 1-line block ×3, first 2 shown]
	s_waitcnt lgkmcnt(0)
	buffer_store_dwordx2 v[66:67], v69, s[0:3], 0 offen
	s_waitcnt lgkmcnt(0)
	s_barrier
	ds_write_b16 v0, v62
	ds_write_b16 v0, v63 offset:64
	ds_write_b16 v0, v64 offset:128
	;; [unrolled: 1-line block ×3, first 2 shown]
	v_mfma_f32_16x16x16f16 v[58:61], v[156:157], v[136:137], v[58:61]
	s_waitcnt lgkmcnt(0)
	s_barrier
	ds_read_b64 v[62:63], v1
	v_add_u32_e32 v64, s4, v68
	v_lshlrev_b32_e32 v65, 1, v64
	s_nop 5
	v_cvt_f16_f32_e32 v58, v58
	v_mfma_f32_16x16x16f16 v[50:53], v[154:155], v[138:139], v[50:53]
	v_cvt_f16_f32_e32 v59, v59
	v_cvt_f16_f32_e32 v60, v60
	;; [unrolled: 1-line block ×3, first 2 shown]
	s_waitcnt lgkmcnt(0)
	buffer_store_dwordx2 v[62:63], v65, s[0:3], 0 offen
	s_waitcnt lgkmcnt(0)
	s_barrier
	ds_write_b16 v0, v58
	ds_write_b16 v0, v59 offset:64
	ds_write_b16 v0, v60 offset:128
	;; [unrolled: 1-line block ×3, first 2 shown]
	v_mfma_f32_16x16x16f16 v[54:57], v[156:157], v[128:129], v[54:57]
	s_waitcnt lgkmcnt(0)
	s_barrier
	ds_read_b64 v[58:59], v1
	s_waitcnt lgkmcnt(0)
	buffer_store_dwordx2 v[58:59], v65, s[0:3], 0 offen offset:64
	v_mfma_f32_16x16x16f16 v[34:37], v[150:151], v[138:139], v[34:37]
	s_nop 4
	v_cvt_f16_f32_e32 v54, v54
	v_cvt_f16_f32_e32 v55, v55
	;; [unrolled: 1-line block ×4, first 2 shown]
	s_waitcnt lgkmcnt(0)
	s_barrier
	ds_write_b16 v0, v54
	ds_write_b16 v0, v55 offset:64
	ds_write_b16 v0, v56 offset:128
	;; [unrolled: 1-line block ×3, first 2 shown]
	v_mfma_f32_16x16x16f16 v[50:53], v[156:157], v[140:141], v[50:53]
	s_waitcnt lgkmcnt(0)
	s_barrier
	ds_read_b64 v[54:55], v1
	s_waitcnt lgkmcnt(0)
	buffer_store_dwordx2 v[54:55], v65, s[0:3], 0 offen offset:128
	v_mfma_f32_16x16x16f16 v[34:37], v[152:153], v[140:141], v[34:37]
	s_nop 4
	v_cvt_f16_f32_e32 v50, v50
	v_cvt_f16_f32_e32 v51, v51
	;; [unrolled: 1-line block ×4, first 2 shown]
	s_waitcnt lgkmcnt(0)
	s_barrier
	ds_write_b16 v0, v50
	ds_write_b16 v0, v51 offset:64
	ds_write_b16 v0, v52 offset:128
	;; [unrolled: 1-line block ×3, first 2 shown]
	v_mfma_f32_16x16x16f16 v[38:41], v[150:151], v[126:127], v[38:41]
	s_waitcnt lgkmcnt(0)
	s_barrier
	ds_read_b64 v[50:51], v1
	v_cvt_f16_f32_e32 v34, v34
	v_add_u32_e32 v52, 0x60, v64
	v_lshlrev_b32_e32 v53, 1, v52
	v_cvt_f16_f32_e32 v35, v35
	v_mfma_f32_16x16x16f16 v[38:41], v[152:153], v[128:129], v[38:41]
	s_waitcnt lgkmcnt(0)
	buffer_store_dwordx2 v[50:51], v53, s[0:3], 0 offen
	s_waitcnt lgkmcnt(0)
	s_barrier
	ds_write_b16 v0, v34
	v_cvt_f16_f32_e32 v34, v36
	v_cvt_f16_f32_e32 v36, v37
	ds_write_b16 v0, v35 offset:64
	v_mfma_f32_16x16x16f16 v[42:45], v[150:151], v[134:135], v[42:45]
	ds_write_b16 v0, v34 offset:128
	ds_write_b16 v0, v36 offset:192
	s_waitcnt lgkmcnt(0)
	s_barrier
	ds_read_b64 v[34:35], v1
	v_cvt_f16_f32_e32 v37, v38
	v_add_lshl_u32 v36, v52, s4, 1
	s_waitcnt lgkmcnt(0)
	buffer_store_dwordx2 v[34:35], v36, s[0:3], 0 offen
	v_cvt_f16_f32_e32 v34, v39
	v_mfma_f32_16x16x16f16 v[42:45], v[152:153], v[136:137], v[42:45]
	v_cvt_f16_f32_e32 v35, v40
	s_waitcnt lgkmcnt(0)
	s_barrier
	ds_write_b16 v0, v37
	v_cvt_f16_f32_e32 v37, v41
	ds_write_b16 v0, v34 offset:64
	ds_write_b16 v0, v35 offset:128
	;; [unrolled: 1-line block ×3, first 2 shown]
	v_mfma_f32_16x16x16f16 v[46:49], v[150:151], v[130:131], v[46:49]
	s_waitcnt lgkmcnt(0)
	s_barrier
	ds_read_b64 v[34:35], v1
	v_subrev_u32_e32 v37, 64, v36
	v_cvt_f16_f32_e32 v38, v45
	v_add_u32_e32 v36, 0xffffff80, v36
	s_waitcnt lgkmcnt(0)
	buffer_store_dwordx2 v[34:35], v37, s[0:3], 0 offen
	v_mfma_f32_16x16x16f16 v[30:33], v[146:147], v[130:131], v[30:33]
	v_cvt_f16_f32_e32 v34, v42
	v_cvt_f16_f32_e32 v35, v43
	;; [unrolled: 1-line block ×3, first 2 shown]
	s_waitcnt lgkmcnt(0)
	s_barrier
	ds_write_b16 v0, v34
	ds_write_b16 v0, v35 offset:64
	ds_write_b16 v0, v37 offset:128
	;; [unrolled: 1-line block ×3, first 2 shown]
	s_waitcnt lgkmcnt(0)
	v_mfma_f32_16x16x16f16 v[46:49], v[152:153], v[132:133], v[46:49]
	s_barrier
	ds_read_b64 v[34:35], v1
	s_waitcnt lgkmcnt(0)
	buffer_store_dwordx2 v[34:35], v36, s[0:3], 0 offen
	v_mfma_f32_16x16x16f16 v[26:29], v[146:147], v[134:135], v[26:29]
	s_nop 5
	v_cvt_f16_f32_e32 v34, v46
	v_cvt_f16_f32_e32 v35, v47
	;; [unrolled: 1-line block ×4, first 2 shown]
	s_waitcnt lgkmcnt(0)
	s_barrier
	ds_write_b16 v0, v34
	ds_write_b16 v0, v35 offset:64
	ds_write_b16 v0, v36 offset:128
	;; [unrolled: 1-line block ×3, first 2 shown]
	v_mfma_f32_16x16x16f16 v[30:33], v[148:149], v[132:133], v[30:33]
	s_waitcnt lgkmcnt(0)
	s_barrier
	ds_read_b64 v[34:35], v1
	v_add_u32_e32 v36, s4, v64
	v_lshlrev_b32_e32 v37, 1, v36
	s_nop 5
	v_cvt_f16_f32_e32 v30, v30
	v_mfma_f32_16x16x16f16 v[22:25], v[146:147], v[126:127], v[22:25]
	v_cvt_f16_f32_e32 v31, v31
	v_cvt_f16_f32_e32 v32, v32
	;; [unrolled: 1-line block ×3, first 2 shown]
	s_waitcnt lgkmcnt(0)
	buffer_store_dwordx2 v[34:35], v37, s[0:3], 0 offen
	s_waitcnt lgkmcnt(0)
	s_barrier
	ds_write_b16 v0, v30
	ds_write_b16 v0, v31 offset:64
	ds_write_b16 v0, v32 offset:128
	;; [unrolled: 1-line block ×3, first 2 shown]
	v_mfma_f32_16x16x16f16 v[26:29], v[148:149], v[136:137], v[26:29]
	s_waitcnt lgkmcnt(0)
	s_barrier
	ds_read_b64 v[30:31], v1
	v_add_u32_e32 v32, s4, v36
	v_lshlrev_b32_e32 v33, 1, v32
	s_nop 5
	v_cvt_f16_f32_e32 v26, v26
	v_mfma_f32_16x16x16f16 v[18:21], v[146:147], v[138:139], v[18:21]
	v_cvt_f16_f32_e32 v27, v27
	v_cvt_f16_f32_e32 v28, v28
	;; [unrolled: 1-line block ×3, first 2 shown]
	s_waitcnt lgkmcnt(0)
	buffer_store_dwordx2 v[30:31], v33, s[0:3], 0 offen
	s_waitcnt lgkmcnt(0)
	s_barrier
	ds_write_b16 v0, v26
	ds_write_b16 v0, v27 offset:64
	ds_write_b16 v0, v28 offset:128
	;; [unrolled: 1-line block ×3, first 2 shown]
	v_mfma_f32_16x16x16f16 v[22:25], v[148:149], v[128:129], v[22:25]
	s_waitcnt lgkmcnt(0)
	s_barrier
	ds_read_b64 v[26:27], v1
	s_waitcnt lgkmcnt(0)
	buffer_store_dwordx2 v[26:27], v33, s[0:3], 0 offen offset:64
	v_mfma_f32_16x16x16f16 v[14:17], v[142:143], v[138:139], v[14:17]
	s_nop 4
	v_cvt_f16_f32_e32 v22, v22
	v_cvt_f16_f32_e32 v23, v23
	;; [unrolled: 1-line block ×4, first 2 shown]
	s_waitcnt lgkmcnt(0)
	s_barrier
	ds_write_b16 v0, v22
	ds_write_b16 v0, v23 offset:64
	ds_write_b16 v0, v24 offset:128
	ds_write_b16 v0, v25 offset:192
	v_mfma_f32_16x16x16f16 v[18:21], v[148:149], v[140:141], v[18:21]
	s_waitcnt lgkmcnt(0)
	s_barrier
	ds_read_b64 v[22:23], v1
	s_waitcnt lgkmcnt(0)
	buffer_store_dwordx2 v[22:23], v33, s[0:3], 0 offen offset:128
	v_mfma_f32_16x16x16f16 v[2:5], v[142:143], v[126:127], v[2:5]
	s_nop 4
	v_cvt_f16_f32_e32 v18, v18
	v_cvt_f16_f32_e32 v19, v19
	;; [unrolled: 1-line block ×4, first 2 shown]
	s_waitcnt lgkmcnt(0)
	s_barrier
	ds_write_b16 v0, v18
	ds_write_b16 v0, v19 offset:64
	ds_write_b16 v0, v20 offset:128
	;; [unrolled: 1-line block ×3, first 2 shown]
	v_mfma_f32_16x16x16f16 v[14:17], v[144:145], v[140:141], v[14:17]
	s_waitcnt lgkmcnt(0)
	s_barrier
	ds_read_b64 v[18:19], v1
	v_add_u32_e32 v20, 0x60, v32
	v_lshlrev_b32_e32 v21, 1, v20
	s_nop 5
	v_cvt_f16_f32_e32 v14, v14
	v_mfma_f32_16x16x16f16 v[2:5], v[144:145], v[128:129], v[2:5]
	v_cvt_f16_f32_e32 v15, v15
	v_cvt_f16_f32_e32 v16, v16
	;; [unrolled: 1-line block ×3, first 2 shown]
	s_waitcnt lgkmcnt(0)
	buffer_store_dwordx2 v[18:19], v21, s[0:3], 0 offen
	s_waitcnt lgkmcnt(0)
	s_barrier
	ds_write_b16 v0, v14
	ds_write_b16 v0, v15 offset:64
	ds_write_b16 v0, v16 offset:128
	ds_write_b16 v0, v17 offset:192
	v_mfma_f32_16x16x16f16 v[6:9], v[142:143], v[134:135], v[6:9]
	s_waitcnt lgkmcnt(0)
	s_barrier
	ds_read_b64 v[14:15], v1
	v_cvt_f16_f32_e32 v2, v2
	v_cvt_f16_f32_e32 v3, v3
	;; [unrolled: 1-line block ×3, first 2 shown]
	v_add_lshl_u32 v16, v20, s4, 1
	v_cvt_f16_f32_e32 v5, v5
	s_waitcnt lgkmcnt(0)
	buffer_store_dwordx2 v[14:15], v16, s[0:3], 0 offen
	s_waitcnt lgkmcnt(0)
	s_barrier
	ds_write_b16 v0, v2
	ds_write_b16 v0, v3 offset:64
	ds_write_b16 v0, v4 offset:128
	;; [unrolled: 1-line block ×3, first 2 shown]
	v_mfma_f32_16x16x16f16 v[2:5], v[144:145], v[136:137], v[6:9]
	s_waitcnt lgkmcnt(0)
	s_barrier
	ds_read_b64 v[14:15], v1
	v_mfma_f32_16x16x16f16 v[10:13], v[142:143], v[130:131], v[10:13]
	s_nop 6
	v_cvt_f16_f32_e32 v2, v2
	v_cvt_f16_f32_e32 v3, v3
	;; [unrolled: 1-line block ×3, first 2 shown]
	v_subrev_u32_e32 v6, 64, v16
	v_cvt_f16_f32_e32 v5, v5
	s_waitcnt lgkmcnt(0)
	buffer_store_dwordx2 v[14:15], v6, s[0:3], 0 offen
	s_waitcnt lgkmcnt(0)
	s_barrier
	ds_write_b16 v0, v2
	ds_write_b16 v0, v3 offset:64
	ds_write_b16 v0, v4 offset:128
	;; [unrolled: 1-line block ×3, first 2 shown]
	v_mfma_f32_16x16x16f16 v[2:5], v[144:145], v[132:133], v[10:13]
	s_waitcnt lgkmcnt(0)
	s_barrier
	ds_read_b64 v[6:7], v1
	v_add_u32_e32 v8, 0xffffff80, v16
	s_waitcnt lgkmcnt(0)
	buffer_store_dwordx2 v[6:7], v8, s[0:3], 0 offen
	s_nop 4
	v_cvt_f16_f32_e32 v2, v2
	v_cvt_f16_f32_e32 v3, v3
	;; [unrolled: 1-line block ×4, first 2 shown]
	s_waitcnt lgkmcnt(0)
	s_barrier
	ds_write_b16 v0, v2
	ds_write_b16 v0, v3 offset:64
	ds_write_b16 v0, v4 offset:128
	;; [unrolled: 1-line block ×3, first 2 shown]
	s_waitcnt lgkmcnt(0)
	s_barrier
	ds_read_b64 v[0:1], v1
	v_add_lshl_u32 v2, v32, s4, 1
	s_waitcnt lgkmcnt(0)
	buffer_store_dwordx2 v[0:1], v2, s[0:3], 0 offen
	s_endpgm
.LBB1_387:
	s_movk_i32 s4, 0x80
	v_cmp_eq_u16_e32 vcc, s4, v9
	s_mov_b64 s[4:5], -1
                                        ; implicit-def: $sgpr23
	s_and_saveexec_b64 s[18:19], vcc
; %bb.388:
	s_movk_i32 s23, 0x7c01
	s_xor_b64 s[4:5], exec, -1
; %bb.389:
	s_or_b64 exec, exec, s[18:19]
	s_and_b64 s[4:5], s[4:5], exec
                                        ; implicit-def: $vgpr9
	s_or_saveexec_b64 s[6:7], s[6:7]
	v_mov_b32_e32 v8, s23
	s_xor_b64 exec, exec, s[6:7]
	s_cbranch_execz .LBB1_2
.LBB1_390:
	v_cmp_ne_u16_e32 vcc, 0, v9
	s_andn2_b64 s[4:5], s[4:5], exec
	s_and_b64 s[18:19], vcc, exec
	s_or_b64 s[4:5], s[4:5], s[18:19]
	v_mov_b32_e32 v8, v9
	s_or_b64 exec, exec, s[6:7]
	s_and_saveexec_b64 s[6:7], s[4:5]
	s_cbranch_execnz .LBB1_3
	s_branch .LBB1_4
.LBB1_391:
	s_movk_i32 s4, 0x80
	v_cmp_eq_u16_sdwa s[24:25], v11, s4 src0_sel:BYTE_0 src1_sel:DWORD
	s_mov_b64 s[4:5], -1
                                        ; implicit-def: $sgpr23
	s_and_saveexec_b64 s[18:19], s[24:25]
; %bb.392:
	s_movk_i32 s23, 0x7c01
	s_xor_b64 s[4:5], exec, -1
; %bb.393:
	s_or_b64 exec, exec, s[18:19]
	s_and_b64 s[4:5], s[4:5], exec
	s_or_saveexec_b64 s[6:7], s[6:7]
	v_mov_b32_e32 v9, s23
	s_xor_b64 exec, exec, s[6:7]
	s_cbranch_execz .LBB1_6
.LBB1_394:
	v_mov_b32_e32 v9, 0
	v_cmp_ne_u16_sdwa s[18:19], v11, v9 src0_sel:BYTE_0 src1_sel:DWORD
	s_andn2_b64 s[4:5], s[4:5], exec
	s_and_b64 s[18:19], s[18:19], exec
	s_or_b64 s[4:5], s[4:5], s[18:19]
	s_or_b64 exec, exec, s[6:7]
	s_and_saveexec_b64 s[6:7], s[4:5]
	s_cbranch_execnz .LBB1_7
	s_branch .LBB1_8
.LBB1_395:
	s_movk_i32 s4, 0x80
	v_cmp_eq_u16_e32 vcc, s4, v12
	s_mov_b64 s[4:5], -1
                                        ; implicit-def: $sgpr23
	s_and_saveexec_b64 s[18:19], vcc
; %bb.396:
	s_movk_i32 s23, 0x7c01
	s_xor_b64 s[4:5], exec, -1
; %bb.397:
	s_or_b64 exec, exec, s[18:19]
	s_and_b64 s[4:5], s[4:5], exec
                                        ; implicit-def: $vgpr12
	s_or_saveexec_b64 s[6:7], s[6:7]
	v_mov_b32_e32 v10, s23
	s_xor_b64 exec, exec, s[6:7]
	s_cbranch_execz .LBB1_10
.LBB1_398:
	v_cmp_ne_u16_e32 vcc, 0, v12
	s_andn2_b64 s[4:5], s[4:5], exec
	s_and_b64 s[18:19], vcc, exec
	v_mov_b32_e32 v10, 0
	s_or_b64 s[4:5], s[4:5], s[18:19]
	s_or_b64 exec, exec, s[6:7]
	s_and_saveexec_b64 s[6:7], s[4:5]
	s_cbranch_execnz .LBB1_11
	s_branch .LBB1_12
.LBB1_399:
	s_movk_i32 s4, 0x80
	v_cmp_eq_u16_sdwa s[24:25], v2, s4 src0_sel:BYTE_3 src1_sel:DWORD
	s_mov_b64 s[4:5], -1
                                        ; implicit-def: $sgpr23
	s_and_saveexec_b64 s[18:19], s[24:25]
; %bb.400:
	s_movk_i32 s23, 0x7c01
	s_xor_b64 s[4:5], exec, -1
; %bb.401:
	s_or_b64 exec, exec, s[18:19]
	s_and_b64 s[4:5], s[4:5], exec
	s_or_saveexec_b64 s[6:7], s[6:7]
	v_mov_b32_e32 v11, s23
	s_xor_b64 exec, exec, s[6:7]
	s_cbranch_execz .LBB1_14
.LBB1_402:
	v_mov_b32_e32 v11, 0
	v_cmp_ne_u16_sdwa s[18:19], v2, v11 src0_sel:BYTE_3 src1_sel:DWORD
	s_andn2_b64 s[4:5], s[4:5], exec
	s_and_b64 s[18:19], s[18:19], exec
	s_or_b64 s[4:5], s[4:5], s[18:19]
	s_or_b64 exec, exec, s[6:7]
	s_and_saveexec_b64 s[6:7], s[4:5]
	s_cbranch_execnz .LBB1_15
	s_branch .LBB1_16
.LBB1_403:
	s_movk_i32 s4, 0x80
	v_cmp_eq_u16_sdwa s[24:25], v3, s4 src0_sel:BYTE_0 src1_sel:DWORD
	s_mov_b64 s[4:5], -1
                                        ; implicit-def: $sgpr23
	s_and_saveexec_b64 s[18:19], s[24:25]
; %bb.404:
	s_movk_i32 s23, 0x7c01
	s_xor_b64 s[4:5], exec, -1
; %bb.405:
	s_or_b64 exec, exec, s[18:19]
	s_and_b64 s[4:5], s[4:5], exec
	s_or_saveexec_b64 s[6:7], s[6:7]
	v_mov_b32_e32 v12, s23
	s_xor_b64 exec, exec, s[6:7]
	s_cbranch_execz .LBB1_18
.LBB1_406:
	v_mov_b32_e32 v12, 0
	v_cmp_ne_u16_sdwa s[18:19], v3, v12 src0_sel:BYTE_0 src1_sel:DWORD
	s_andn2_b64 s[4:5], s[4:5], exec
	s_and_b64 s[18:19], s[18:19], exec
	s_or_b64 s[4:5], s[4:5], s[18:19]
	s_or_b64 exec, exec, s[6:7]
	s_and_saveexec_b64 s[6:7], s[4:5]
	s_cbranch_execnz .LBB1_19
	s_branch .LBB1_20
.LBB1_407:
	s_movk_i32 s4, 0x80
	v_cmp_eq_u16_sdwa s[24:25], v2, s4 src0_sel:BYTE_0 src1_sel:DWORD
	s_mov_b64 s[4:5], -1
                                        ; implicit-def: $sgpr23
	s_and_saveexec_b64 s[18:19], s[24:25]
; %bb.408:
	s_movk_i32 s23, 0x7c01
	s_xor_b64 s[4:5], exec, -1
; %bb.409:
	s_or_b64 exec, exec, s[18:19]
	s_and_b64 s[4:5], s[4:5], exec
	s_or_saveexec_b64 s[6:7], s[6:7]
	v_mov_b32_e32 v13, s23
	s_xor_b64 exec, exec, s[6:7]
	s_cbranch_execz .LBB1_22
.LBB1_410:
	v_mov_b32_e32 v13, 0
	v_cmp_ne_u16_sdwa s[18:19], v2, v13 src0_sel:BYTE_0 src1_sel:DWORD
	s_andn2_b64 s[4:5], s[4:5], exec
	s_and_b64 s[18:19], s[18:19], exec
	s_or_b64 s[4:5], s[4:5], s[18:19]
	s_or_b64 exec, exec, s[6:7]
	s_and_saveexec_b64 s[6:7], s[4:5]
	s_cbranch_execnz .LBB1_23
	s_branch .LBB1_24
.LBB1_411:
	s_movk_i32 s4, 0x80
	v_cmp_eq_u16_e32 vcc, s4, v16
	s_mov_b64 s[4:5], -1
                                        ; implicit-def: $sgpr23
	s_and_saveexec_b64 s[18:19], vcc
; %bb.412:
	s_movk_i32 s23, 0x7c01
	s_xor_b64 s[4:5], exec, -1
; %bb.413:
	s_or_b64 exec, exec, s[18:19]
	s_and_b64 s[4:5], s[4:5], exec
                                        ; implicit-def: $vgpr16
	s_or_saveexec_b64 s[6:7], s[6:7]
	v_mov_b32_e32 v15, s23
	s_xor_b64 exec, exec, s[6:7]
	s_cbranch_execz .LBB1_26
.LBB1_414:
	v_cmp_ne_u16_e32 vcc, 0, v16
	s_andn2_b64 s[4:5], s[4:5], exec
	s_and_b64 s[18:19], vcc, exec
	v_mov_b32_e32 v15, 0
	s_or_b64 s[4:5], s[4:5], s[18:19]
	s_or_b64 exec, exec, s[6:7]
	s_and_saveexec_b64 s[6:7], s[4:5]
	s_cbranch_execnz .LBB1_27
	s_branch .LBB1_28
.LBB1_415:
	s_movk_i32 s4, 0x80
	v_cmp_eq_u16_sdwa s[24:25], v3, s4 src0_sel:BYTE_3 src1_sel:DWORD
	s_mov_b64 s[4:5], -1
                                        ; implicit-def: $sgpr23
	s_and_saveexec_b64 s[18:19], s[24:25]
; %bb.416:
	s_movk_i32 s23, 0x7c01
	s_xor_b64 s[4:5], exec, -1
; %bb.417:
	s_or_b64 exec, exec, s[18:19]
	s_and_b64 s[4:5], s[4:5], exec
	s_or_saveexec_b64 s[6:7], s[6:7]
	v_mov_b32_e32 v16, s23
	s_xor_b64 exec, exec, s[6:7]
	s_cbranch_execz .LBB1_30
.LBB1_418:
	v_mov_b32_e32 v16, 0
	v_cmp_ne_u16_sdwa s[18:19], v3, v16 src0_sel:BYTE_3 src1_sel:DWORD
	s_andn2_b64 s[4:5], s[4:5], exec
	s_and_b64 s[18:19], s[18:19], exec
	s_or_b64 s[4:5], s[4:5], s[18:19]
	s_or_b64 exec, exec, s[6:7]
	s_and_saveexec_b64 s[6:7], s[4:5]
	s_cbranch_execnz .LBB1_31
	s_branch .LBB1_32
.LBB1_419:
	s_movk_i32 s4, 0x80
	v_cmp_eq_u16_e32 vcc, s4, v18
	s_mov_b64 s[4:5], -1
                                        ; implicit-def: $sgpr23
	s_and_saveexec_b64 s[18:19], vcc
; %bb.420:
	s_movk_i32 s23, 0x7c01
	s_xor_b64 s[4:5], exec, -1
; %bb.421:
	s_or_b64 exec, exec, s[18:19]
	s_and_b64 s[4:5], s[4:5], exec
                                        ; implicit-def: $vgpr18
	s_or_saveexec_b64 s[6:7], s[6:7]
	v_mov_b32_e32 v17, s23
	s_xor_b64 exec, exec, s[6:7]
	s_cbranch_execz .LBB1_34
.LBB1_422:
	v_cmp_ne_u16_e32 vcc, 0, v18
	s_andn2_b64 s[4:5], s[4:5], exec
	s_and_b64 s[18:19], vcc, exec
	s_or_b64 s[4:5], s[4:5], s[18:19]
	v_mov_b32_e32 v17, v18
	s_or_b64 exec, exec, s[6:7]
	s_and_saveexec_b64 s[6:7], s[4:5]
	s_cbranch_execnz .LBB1_35
	s_branch .LBB1_36
.LBB1_423:
	s_movk_i32 s4, 0x80
	v_cmp_eq_u16_sdwa s[24:25], v20, s4 src0_sel:BYTE_0 src1_sel:DWORD
	s_mov_b64 s[4:5], -1
                                        ; implicit-def: $sgpr23
	s_and_saveexec_b64 s[18:19], s[24:25]
; %bb.424:
	s_movk_i32 s23, 0x7c01
	s_xor_b64 s[4:5], exec, -1
; %bb.425:
	s_or_b64 exec, exec, s[18:19]
	s_and_b64 s[4:5], s[4:5], exec
	s_or_saveexec_b64 s[6:7], s[6:7]
	v_mov_b32_e32 v18, s23
	s_xor_b64 exec, exec, s[6:7]
	s_cbranch_execz .LBB1_38
.LBB1_426:
	v_mov_b32_e32 v18, 0
	v_cmp_ne_u16_sdwa s[18:19], v20, v18 src0_sel:BYTE_0 src1_sel:DWORD
	s_andn2_b64 s[4:5], s[4:5], exec
	s_and_b64 s[18:19], s[18:19], exec
	s_or_b64 s[4:5], s[4:5], s[18:19]
	s_or_b64 exec, exec, s[6:7]
	s_and_saveexec_b64 s[6:7], s[4:5]
	s_cbranch_execnz .LBB1_39
	s_branch .LBB1_40
.LBB1_427:
	s_movk_i32 s4, 0x80
	v_cmp_eq_u16_e32 vcc, s4, v21
	s_mov_b64 s[4:5], -1
                                        ; implicit-def: $sgpr23
	s_and_saveexec_b64 s[18:19], vcc
; %bb.428:
	s_movk_i32 s23, 0x7c01
	s_xor_b64 s[4:5], exec, -1
; %bb.429:
	s_or_b64 exec, exec, s[18:19]
	s_and_b64 s[4:5], s[4:5], exec
                                        ; implicit-def: $vgpr21
	s_or_saveexec_b64 s[6:7], s[6:7]
	v_mov_b32_e32 v19, s23
	s_xor_b64 exec, exec, s[6:7]
	s_cbranch_execz .LBB1_42
.LBB1_430:
	v_cmp_ne_u16_e32 vcc, 0, v21
	s_andn2_b64 s[4:5], s[4:5], exec
	s_and_b64 s[18:19], vcc, exec
	v_mov_b32_e32 v19, 0
	s_or_b64 s[4:5], s[4:5], s[18:19]
	s_or_b64 exec, exec, s[6:7]
	s_and_saveexec_b64 s[6:7], s[4:5]
	s_cbranch_execnz .LBB1_43
	s_branch .LBB1_44
.LBB1_431:
	s_movk_i32 s4, 0x80
	v_cmp_eq_u16_sdwa s[24:25], v2, s4 src0_sel:BYTE_3 src1_sel:DWORD
	s_mov_b64 s[4:5], -1
                                        ; implicit-def: $sgpr23
	s_and_saveexec_b64 s[18:19], s[24:25]
; %bb.432:
	s_movk_i32 s23, 0x7c01
	s_xor_b64 s[4:5], exec, -1
; %bb.433:
	s_or_b64 exec, exec, s[18:19]
	s_and_b64 s[4:5], s[4:5], exec
	s_or_saveexec_b64 s[6:7], s[6:7]
	v_mov_b32_e32 v20, s23
	s_xor_b64 exec, exec, s[6:7]
	s_cbranch_execz .LBB1_46
.LBB1_434:
	v_mov_b32_e32 v20, 0
	v_cmp_ne_u16_sdwa s[18:19], v2, v20 src0_sel:BYTE_3 src1_sel:DWORD
	s_andn2_b64 s[4:5], s[4:5], exec
	s_and_b64 s[18:19], s[18:19], exec
	s_or_b64 s[4:5], s[4:5], s[18:19]
	s_or_b64 exec, exec, s[6:7]
	s_and_saveexec_b64 s[6:7], s[4:5]
	s_cbranch_execnz .LBB1_47
	s_branch .LBB1_48
.LBB1_435:
	s_movk_i32 s4, 0x80
	v_cmp_eq_u16_sdwa s[24:25], v3, s4 src0_sel:BYTE_0 src1_sel:DWORD
	s_mov_b64 s[4:5], -1
                                        ; implicit-def: $sgpr23
	s_and_saveexec_b64 s[18:19], s[24:25]
; %bb.436:
	s_movk_i32 s23, 0x7c01
	s_xor_b64 s[4:5], exec, -1
; %bb.437:
	s_or_b64 exec, exec, s[18:19]
	s_and_b64 s[4:5], s[4:5], exec
	s_or_saveexec_b64 s[6:7], s[6:7]
	v_mov_b32_e32 v21, s23
	s_xor_b64 exec, exec, s[6:7]
	s_cbranch_execz .LBB1_50
.LBB1_438:
	v_mov_b32_e32 v21, 0
	v_cmp_ne_u16_sdwa s[18:19], v3, v21 src0_sel:BYTE_0 src1_sel:DWORD
	s_andn2_b64 s[4:5], s[4:5], exec
	s_and_b64 s[18:19], s[18:19], exec
	s_or_b64 s[4:5], s[4:5], s[18:19]
	s_or_b64 exec, exec, s[6:7]
	s_and_saveexec_b64 s[6:7], s[4:5]
	s_cbranch_execnz .LBB1_51
	s_branch .LBB1_52
.LBB1_439:
	s_movk_i32 s4, 0x80
	v_cmp_eq_u16_sdwa s[24:25], v2, s4 src0_sel:BYTE_0 src1_sel:DWORD
	s_mov_b64 s[4:5], -1
                                        ; implicit-def: $sgpr23
	s_and_saveexec_b64 s[18:19], s[24:25]
; %bb.440:
	s_movk_i32 s23, 0x7c01
	s_xor_b64 s[4:5], exec, -1
; %bb.441:
	s_or_b64 exec, exec, s[18:19]
	s_and_b64 s[4:5], s[4:5], exec
	s_or_saveexec_b64 s[6:7], s[6:7]
	v_mov_b32_e32 v22, s23
	s_xor_b64 exec, exec, s[6:7]
	s_cbranch_execz .LBB1_54
.LBB1_442:
	v_mov_b32_e32 v22, 0
	v_cmp_ne_u16_sdwa s[18:19], v2, v22 src0_sel:BYTE_0 src1_sel:DWORD
	s_andn2_b64 s[4:5], s[4:5], exec
	s_and_b64 s[18:19], s[18:19], exec
	s_or_b64 s[4:5], s[4:5], s[18:19]
	s_or_b64 exec, exec, s[6:7]
	s_and_saveexec_b64 s[6:7], s[4:5]
	s_cbranch_execnz .LBB1_55
	s_branch .LBB1_56
.LBB1_443:
	s_movk_i32 s4, 0x80
	v_cmp_eq_u16_e32 vcc, s4, v24
	s_mov_b64 s[4:5], -1
                                        ; implicit-def: $sgpr23
	s_and_saveexec_b64 s[18:19], vcc
; %bb.444:
	s_movk_i32 s23, 0x7c01
	s_xor_b64 s[4:5], exec, -1
; %bb.445:
	s_or_b64 exec, exec, s[18:19]
	s_and_b64 s[4:5], s[4:5], exec
                                        ; implicit-def: $vgpr24
	s_or_saveexec_b64 s[6:7], s[6:7]
	v_mov_b32_e32 v23, s23
	s_xor_b64 exec, exec, s[6:7]
	s_cbranch_execz .LBB1_58
.LBB1_446:
	v_cmp_ne_u16_e32 vcc, 0, v24
	s_andn2_b64 s[4:5], s[4:5], exec
	s_and_b64 s[18:19], vcc, exec
	v_mov_b32_e32 v23, 0
	s_or_b64 s[4:5], s[4:5], s[18:19]
	s_or_b64 exec, exec, s[6:7]
	s_and_saveexec_b64 s[6:7], s[4:5]
	s_cbranch_execnz .LBB1_59
	s_branch .LBB1_60
.LBB1_447:
	s_movk_i32 s4, 0x80
	v_cmp_eq_u16_sdwa s[24:25], v3, s4 src0_sel:BYTE_3 src1_sel:DWORD
	s_mov_b64 s[4:5], -1
                                        ; implicit-def: $sgpr23
	s_and_saveexec_b64 s[18:19], s[24:25]
; %bb.448:
	s_movk_i32 s23, 0x7c01
	s_xor_b64 s[4:5], exec, -1
; %bb.449:
	s_or_b64 exec, exec, s[18:19]
	s_and_b64 s[4:5], s[4:5], exec
	s_or_saveexec_b64 s[6:7], s[6:7]
	v_mov_b32_e32 v24, s23
	s_xor_b64 exec, exec, s[6:7]
	s_cbranch_execz .LBB1_62
.LBB1_450:
	v_mov_b32_e32 v24, 0
	v_cmp_ne_u16_sdwa s[18:19], v3, v24 src0_sel:BYTE_3 src1_sel:DWORD
	s_andn2_b64 s[4:5], s[4:5], exec
	s_and_b64 s[18:19], s[18:19], exec
	s_or_b64 s[4:5], s[4:5], s[18:19]
	s_or_b64 exec, exec, s[6:7]
	s_and_saveexec_b64 s[6:7], s[4:5]
	s_cbranch_execnz .LBB1_63
	s_branch .LBB1_64
.LBB1_451:
	s_movk_i32 s4, 0x80
	v_cmp_eq_u16_e32 vcc, s4, v26
	s_mov_b64 s[4:5], -1
                                        ; implicit-def: $sgpr23
	s_and_saveexec_b64 s[18:19], vcc
; %bb.452:
	s_movk_i32 s23, 0x7c01
	s_xor_b64 s[4:5], exec, -1
; %bb.453:
	s_or_b64 exec, exec, s[18:19]
	s_and_b64 s[4:5], s[4:5], exec
                                        ; implicit-def: $vgpr26
	s_or_saveexec_b64 s[6:7], s[6:7]
	v_mov_b32_e32 v25, s23
	s_xor_b64 exec, exec, s[6:7]
	s_cbranch_execz .LBB1_66
.LBB1_454:
	v_cmp_ne_u16_e32 vcc, 0, v26
	s_andn2_b64 s[4:5], s[4:5], exec
	s_and_b64 s[18:19], vcc, exec
	s_or_b64 s[4:5], s[4:5], s[18:19]
	v_mov_b32_e32 v25, v26
	s_or_b64 exec, exec, s[6:7]
	s_and_saveexec_b64 s[6:7], s[4:5]
	s_cbranch_execnz .LBB1_67
	s_branch .LBB1_68
.LBB1_455:
	s_movk_i32 s4, 0x80
	v_cmp_eq_u16_sdwa s[24:25], v28, s4 src0_sel:BYTE_0 src1_sel:DWORD
	s_mov_b64 s[4:5], -1
                                        ; implicit-def: $sgpr23
	s_and_saveexec_b64 s[18:19], s[24:25]
; %bb.456:
	s_movk_i32 s23, 0x7c01
	s_xor_b64 s[4:5], exec, -1
; %bb.457:
	s_or_b64 exec, exec, s[18:19]
	s_and_b64 s[4:5], s[4:5], exec
	s_or_saveexec_b64 s[6:7], s[6:7]
	v_mov_b32_e32 v26, s23
	s_xor_b64 exec, exec, s[6:7]
	s_cbranch_execz .LBB1_70
.LBB1_458:
	v_mov_b32_e32 v26, 0
	v_cmp_ne_u16_sdwa s[18:19], v28, v26 src0_sel:BYTE_0 src1_sel:DWORD
	s_andn2_b64 s[4:5], s[4:5], exec
	s_and_b64 s[18:19], s[18:19], exec
	s_or_b64 s[4:5], s[4:5], s[18:19]
	s_or_b64 exec, exec, s[6:7]
	s_and_saveexec_b64 s[6:7], s[4:5]
	s_cbranch_execnz .LBB1_71
	s_branch .LBB1_72
.LBB1_459:
	s_movk_i32 s4, 0x80
	v_cmp_eq_u16_e32 vcc, s4, v29
	s_mov_b64 s[4:5], -1
                                        ; implicit-def: $sgpr23
	s_and_saveexec_b64 s[18:19], vcc
; %bb.460:
	s_movk_i32 s23, 0x7c01
	s_xor_b64 s[4:5], exec, -1
; %bb.461:
	s_or_b64 exec, exec, s[18:19]
	s_and_b64 s[4:5], s[4:5], exec
                                        ; implicit-def: $vgpr29
	s_or_saveexec_b64 s[6:7], s[6:7]
	v_mov_b32_e32 v27, s23
	s_xor_b64 exec, exec, s[6:7]
	s_cbranch_execz .LBB1_74
.LBB1_462:
	v_cmp_ne_u16_e32 vcc, 0, v29
	s_andn2_b64 s[4:5], s[4:5], exec
	s_and_b64 s[18:19], vcc, exec
	v_mov_b32_e32 v27, 0
	s_or_b64 s[4:5], s[4:5], s[18:19]
	s_or_b64 exec, exec, s[6:7]
	s_and_saveexec_b64 s[6:7], s[4:5]
	s_cbranch_execnz .LBB1_75
	s_branch .LBB1_76
.LBB1_463:
	s_movk_i32 s4, 0x80
	v_cmp_eq_u16_sdwa s[24:25], v2, s4 src0_sel:BYTE_3 src1_sel:DWORD
	s_mov_b64 s[4:5], -1
                                        ; implicit-def: $sgpr23
	s_and_saveexec_b64 s[18:19], s[24:25]
; %bb.464:
	s_movk_i32 s23, 0x7c01
	s_xor_b64 s[4:5], exec, -1
; %bb.465:
	s_or_b64 exec, exec, s[18:19]
	s_and_b64 s[4:5], s[4:5], exec
	s_or_saveexec_b64 s[6:7], s[6:7]
	v_mov_b32_e32 v28, s23
	s_xor_b64 exec, exec, s[6:7]
	s_cbranch_execz .LBB1_78
.LBB1_466:
	v_mov_b32_e32 v28, 0
	v_cmp_ne_u16_sdwa s[18:19], v2, v28 src0_sel:BYTE_3 src1_sel:DWORD
	s_andn2_b64 s[4:5], s[4:5], exec
	s_and_b64 s[18:19], s[18:19], exec
	s_or_b64 s[4:5], s[4:5], s[18:19]
	s_or_b64 exec, exec, s[6:7]
	s_and_saveexec_b64 s[6:7], s[4:5]
	s_cbranch_execnz .LBB1_79
	s_branch .LBB1_80
.LBB1_467:
	s_movk_i32 s4, 0x80
	v_cmp_eq_u16_sdwa s[24:25], v3, s4 src0_sel:BYTE_0 src1_sel:DWORD
	s_mov_b64 s[4:5], -1
                                        ; implicit-def: $sgpr23
	s_and_saveexec_b64 s[18:19], s[24:25]
; %bb.468:
	s_movk_i32 s23, 0x7c01
	s_xor_b64 s[4:5], exec, -1
; %bb.469:
	s_or_b64 exec, exec, s[18:19]
	s_and_b64 s[4:5], s[4:5], exec
	s_or_saveexec_b64 s[6:7], s[6:7]
	v_mov_b32_e32 v29, s23
	s_xor_b64 exec, exec, s[6:7]
	s_cbranch_execz .LBB1_82
.LBB1_470:
	v_mov_b32_e32 v29, 0
	v_cmp_ne_u16_sdwa s[18:19], v3, v29 src0_sel:BYTE_0 src1_sel:DWORD
	s_andn2_b64 s[4:5], s[4:5], exec
	s_and_b64 s[18:19], s[18:19], exec
	s_or_b64 s[4:5], s[4:5], s[18:19]
	s_or_b64 exec, exec, s[6:7]
	s_and_saveexec_b64 s[6:7], s[4:5]
	s_cbranch_execnz .LBB1_83
	s_branch .LBB1_84
.LBB1_471:
	s_movk_i32 s4, 0x80
	v_cmp_eq_u16_sdwa s[24:25], v2, s4 src0_sel:BYTE_0 src1_sel:DWORD
	s_mov_b64 s[4:5], -1
                                        ; implicit-def: $sgpr23
	s_and_saveexec_b64 s[18:19], s[24:25]
; %bb.472:
	s_movk_i32 s23, 0x7c01
	s_xor_b64 s[4:5], exec, -1
; %bb.473:
	s_or_b64 exec, exec, s[18:19]
	s_and_b64 s[4:5], s[4:5], exec
	s_or_saveexec_b64 s[6:7], s[6:7]
	v_mov_b32_e32 v30, s23
	s_xor_b64 exec, exec, s[6:7]
	s_cbranch_execz .LBB1_86
.LBB1_474:
	v_mov_b32_e32 v30, 0
	v_cmp_ne_u16_sdwa s[18:19], v2, v30 src0_sel:BYTE_0 src1_sel:DWORD
	s_andn2_b64 s[4:5], s[4:5], exec
	s_and_b64 s[18:19], s[18:19], exec
	s_or_b64 s[4:5], s[4:5], s[18:19]
	s_or_b64 exec, exec, s[6:7]
	s_and_saveexec_b64 s[6:7], s[4:5]
	s_cbranch_execnz .LBB1_87
	s_branch .LBB1_88
.LBB1_475:
	s_movk_i32 s4, 0x80
	v_cmp_eq_u16_e32 vcc, s4, v32
	s_mov_b64 s[4:5], -1
                                        ; implicit-def: $sgpr23
	s_and_saveexec_b64 s[18:19], vcc
; %bb.476:
	s_movk_i32 s23, 0x7c01
	s_xor_b64 s[4:5], exec, -1
; %bb.477:
	s_or_b64 exec, exec, s[18:19]
	s_and_b64 s[4:5], s[4:5], exec
                                        ; implicit-def: $vgpr32
	s_or_saveexec_b64 s[6:7], s[6:7]
	v_mov_b32_e32 v31, s23
	s_xor_b64 exec, exec, s[6:7]
	s_cbranch_execz .LBB1_90
.LBB1_478:
	v_cmp_ne_u16_e32 vcc, 0, v32
	s_andn2_b64 s[4:5], s[4:5], exec
	s_and_b64 s[18:19], vcc, exec
	v_mov_b32_e32 v31, 0
	s_or_b64 s[4:5], s[4:5], s[18:19]
	s_or_b64 exec, exec, s[6:7]
	s_and_saveexec_b64 s[6:7], s[4:5]
	s_cbranch_execnz .LBB1_91
	s_branch .LBB1_92
.LBB1_479:
	s_movk_i32 s4, 0x80
	v_cmp_eq_u16_sdwa s[24:25], v3, s4 src0_sel:BYTE_3 src1_sel:DWORD
	s_mov_b64 s[4:5], -1
                                        ; implicit-def: $sgpr23
	s_and_saveexec_b64 s[18:19], s[24:25]
; %bb.480:
	s_movk_i32 s23, 0x7c01
	s_xor_b64 s[4:5], exec, -1
; %bb.481:
	s_or_b64 exec, exec, s[18:19]
	s_and_b64 s[4:5], s[4:5], exec
	s_or_saveexec_b64 s[6:7], s[6:7]
	v_mov_b32_e32 v32, s23
	s_xor_b64 exec, exec, s[6:7]
	s_cbranch_execz .LBB1_94
.LBB1_482:
	v_mov_b32_e32 v32, 0
	v_cmp_ne_u16_sdwa s[18:19], v3, v32 src0_sel:BYTE_3 src1_sel:DWORD
	s_andn2_b64 s[4:5], s[4:5], exec
	s_and_b64 s[18:19], s[18:19], exec
	s_or_b64 s[4:5], s[4:5], s[18:19]
	s_or_b64 exec, exec, s[6:7]
	s_and_saveexec_b64 s[6:7], s[4:5]
	s_cbranch_execnz .LBB1_95
	s_branch .LBB1_96
.LBB1_483:
	s_movk_i32 s4, 0x80
	v_cmp_eq_u16_e32 vcc, s4, v14
	s_mov_b64 s[4:5], -1
                                        ; implicit-def: $sgpr23
	s_and_saveexec_b64 s[18:19], vcc
; %bb.484:
	s_movk_i32 s23, 0x7c01
	s_xor_b64 s[4:5], exec, -1
; %bb.485:
	s_or_b64 exec, exec, s[18:19]
	s_and_b64 s[4:5], s[4:5], exec
                                        ; implicit-def: $vgpr14
	s_or_saveexec_b64 s[6:7], s[6:7]
	v_mov_b32_e32 v33, s23
	s_xor_b64 exec, exec, s[6:7]
	s_cbranch_execz .LBB1_98
.LBB1_486:
	v_cmp_ne_u16_e32 vcc, 0, v14
	s_andn2_b64 s[4:5], s[4:5], exec
	s_and_b64 s[18:19], vcc, exec
	s_or_b64 s[4:5], s[4:5], s[18:19]
	v_mov_b32_e32 v33, v14
	s_or_b64 exec, exec, s[6:7]
	s_and_saveexec_b64 s[6:7], s[4:5]
	s_cbranch_execnz .LBB1_99
	s_branch .LBB1_100
.LBB1_487:
	s_movk_i32 s4, 0x80
	v_cmp_eq_u16_sdwa s[24:25], v14, s4 src0_sel:BYTE_0 src1_sel:DWORD
	s_mov_b64 s[4:5], -1
                                        ; implicit-def: $sgpr23
	s_and_saveexec_b64 s[18:19], s[24:25]
; %bb.488:
	s_movk_i32 s23, 0x7c01
	s_xor_b64 s[4:5], exec, -1
; %bb.489:
	s_or_b64 exec, exec, s[18:19]
	s_and_b64 s[4:5], s[4:5], exec
	s_or_saveexec_b64 s[6:7], s[6:7]
	v_mov_b32_e32 v34, s23
	s_xor_b64 exec, exec, s[6:7]
	s_cbranch_execz .LBB1_102
.LBB1_490:
	v_mov_b32_e32 v34, 0
	v_cmp_ne_u16_sdwa s[18:19], v14, v34 src0_sel:BYTE_0 src1_sel:DWORD
	s_andn2_b64 s[4:5], s[4:5], exec
	s_and_b64 s[18:19], s[18:19], exec
	s_or_b64 s[4:5], s[4:5], s[18:19]
	s_or_b64 exec, exec, s[6:7]
	s_and_saveexec_b64 s[6:7], s[4:5]
	s_cbranch_execnz .LBB1_103
	s_branch .LBB1_104
.LBB1_491:
	s_movk_i32 s4, 0x80
	v_cmp_eq_u16_e32 vcc, s4, v36
	s_mov_b64 s[4:5], -1
                                        ; implicit-def: $sgpr23
	s_and_saveexec_b64 s[18:19], vcc
; %bb.492:
	s_movk_i32 s23, 0x7c01
	s_xor_b64 s[4:5], exec, -1
; %bb.493:
	s_or_b64 exec, exec, s[18:19]
	s_and_b64 s[4:5], s[4:5], exec
                                        ; implicit-def: $vgpr36
	s_or_saveexec_b64 s[6:7], s[6:7]
	v_mov_b32_e32 v35, s23
	s_xor_b64 exec, exec, s[6:7]
	s_cbranch_execz .LBB1_106
.LBB1_494:
	v_cmp_ne_u16_e32 vcc, 0, v36
	s_andn2_b64 s[4:5], s[4:5], exec
	s_and_b64 s[18:19], vcc, exec
	v_mov_b32_e32 v35, 0
	s_or_b64 s[4:5], s[4:5], s[18:19]
	s_or_b64 exec, exec, s[6:7]
	s_and_saveexec_b64 s[6:7], s[4:5]
	s_cbranch_execnz .LBB1_107
	s_branch .LBB1_108
.LBB1_495:
	s_movk_i32 s4, 0x80
	v_cmp_eq_u16_sdwa s[24:25], v2, s4 src0_sel:BYTE_3 src1_sel:DWORD
	s_mov_b64 s[4:5], -1
                                        ; implicit-def: $sgpr23
	s_and_saveexec_b64 s[18:19], s[24:25]
; %bb.496:
	s_movk_i32 s23, 0x7c01
	s_xor_b64 s[4:5], exec, -1
; %bb.497:
	s_or_b64 exec, exec, s[18:19]
	s_and_b64 s[4:5], s[4:5], exec
	s_or_saveexec_b64 s[6:7], s[6:7]
	v_mov_b32_e32 v36, s23
	s_xor_b64 exec, exec, s[6:7]
	s_cbranch_execz .LBB1_110
.LBB1_498:
	v_mov_b32_e32 v36, 0
	v_cmp_ne_u16_sdwa s[18:19], v2, v36 src0_sel:BYTE_3 src1_sel:DWORD
	s_andn2_b64 s[4:5], s[4:5], exec
	s_and_b64 s[18:19], s[18:19], exec
	s_or_b64 s[4:5], s[4:5], s[18:19]
	s_or_b64 exec, exec, s[6:7]
	s_and_saveexec_b64 s[6:7], s[4:5]
	s_cbranch_execnz .LBB1_111
	s_branch .LBB1_112
.LBB1_499:
	s_movk_i32 s4, 0x80
	v_cmp_eq_u16_sdwa s[24:25], v3, s4 src0_sel:BYTE_0 src1_sel:DWORD
	s_mov_b64 s[4:5], -1
                                        ; implicit-def: $sgpr23
	s_and_saveexec_b64 s[18:19], s[24:25]
; %bb.500:
	s_movk_i32 s23, 0x7c01
	s_xor_b64 s[4:5], exec, -1
; %bb.501:
	s_or_b64 exec, exec, s[18:19]
	s_and_b64 s[4:5], s[4:5], exec
	s_or_saveexec_b64 s[6:7], s[6:7]
	v_mov_b32_e32 v2, s23
	s_xor_b64 exec, exec, s[6:7]
	s_cbranch_execz .LBB1_114
.LBB1_502:
	v_mov_b32_e32 v2, 0
	v_cmp_ne_u16_sdwa s[18:19], v3, v2 src0_sel:BYTE_0 src1_sel:DWORD
	s_andn2_b64 s[4:5], s[4:5], exec
	s_and_b64 s[18:19], s[18:19], exec
	s_or_b64 s[4:5], s[4:5], s[18:19]
	s_or_b64 exec, exec, s[6:7]
	s_and_saveexec_b64 s[6:7], s[4:5]
	s_cbranch_execnz .LBB1_115
	s_branch .LBB1_116
.LBB1_503:
	s_movk_i32 s4, 0x80
	v_cmp_eq_u16_sdwa s[24:25], v14, s4 src0_sel:BYTE_0 src1_sel:DWORD
	s_mov_b64 s[4:5], -1
                                        ; implicit-def: $sgpr23
	s_and_saveexec_b64 s[18:19], s[24:25]
; %bb.504:
	s_movk_i32 s23, 0x7c01
	s_xor_b64 s[4:5], exec, -1
; %bb.505:
	s_or_b64 exec, exec, s[18:19]
	s_and_b64 s[4:5], s[4:5], exec
	s_or_saveexec_b64 s[6:7], s[6:7]
	v_mov_b32_e32 v37, s23
	s_xor_b64 exec, exec, s[6:7]
	s_cbranch_execz .LBB1_118
.LBB1_506:
	v_mov_b32_e32 v37, 0
	v_cmp_ne_u16_sdwa s[18:19], v14, v37 src0_sel:BYTE_0 src1_sel:DWORD
	s_andn2_b64 s[4:5], s[4:5], exec
	s_and_b64 s[18:19], s[18:19], exec
	s_or_b64 s[4:5], s[4:5], s[18:19]
	s_or_b64 exec, exec, s[6:7]
	s_and_saveexec_b64 s[6:7], s[4:5]
	s_cbranch_execnz .LBB1_119
	s_branch .LBB1_120
.LBB1_507:
	s_movk_i32 s4, 0x80
	v_cmp_eq_u16_e32 vcc, s4, v39
	s_mov_b64 s[4:5], -1
                                        ; implicit-def: $sgpr23
	s_and_saveexec_b64 s[18:19], vcc
; %bb.508:
	s_movk_i32 s23, 0x7c01
	s_xor_b64 s[4:5], exec, -1
; %bb.509:
	s_or_b64 exec, exec, s[18:19]
	s_and_b64 s[4:5], s[4:5], exec
                                        ; implicit-def: $vgpr39
	s_or_saveexec_b64 s[6:7], s[6:7]
	v_mov_b32_e32 v38, s23
	s_xor_b64 exec, exec, s[6:7]
	s_cbranch_execz .LBB1_122
.LBB1_510:
	v_cmp_ne_u16_e32 vcc, 0, v39
	s_andn2_b64 s[4:5], s[4:5], exec
	s_and_b64 s[18:19], vcc, exec
	v_mov_b32_e32 v38, 0
	s_or_b64 s[4:5], s[4:5], s[18:19]
	s_or_b64 exec, exec, s[6:7]
	s_and_saveexec_b64 s[6:7], s[4:5]
	s_cbranch_execnz .LBB1_123
	s_branch .LBB1_124
.LBB1_511:
	s_movk_i32 s4, 0x80
	v_cmp_eq_u16_sdwa s[24:25], v3, s4 src0_sel:BYTE_3 src1_sel:DWORD
	s_mov_b64 s[4:5], -1
                                        ; implicit-def: $sgpr23
	s_and_saveexec_b64 s[18:19], s[24:25]
; %bb.512:
	s_movk_i32 s23, 0x7c01
	s_xor_b64 s[4:5], exec, -1
; %bb.513:
	s_or_b64 exec, exec, s[18:19]
	s_and_b64 s[4:5], s[4:5], exec
	s_or_saveexec_b64 s[6:7], s[6:7]
	v_mov_b32_e32 v39, s23
	s_xor_b64 exec, exec, s[6:7]
	s_cbranch_execz .LBB1_126
.LBB1_514:
	v_mov_b32_e32 v39, 0
	v_cmp_ne_u16_sdwa s[18:19], v3, v39 src0_sel:BYTE_3 src1_sel:DWORD
	s_andn2_b64 s[4:5], s[4:5], exec
	s_and_b64 s[18:19], s[18:19], exec
	s_or_b64 s[4:5], s[4:5], s[18:19]
	s_or_b64 exec, exec, s[6:7]
	s_and_saveexec_b64 s[6:7], s[4:5]
	s_cbranch_execnz .LBB1_127
	s_branch .LBB1_128
	.section	.rodata,"a",@progbits
	.p2align	6, 0x0
	.amdhsa_kernel _ZN2ck27kernel_gemm_xdl_cshuffle_v1INS_43GridwiseGemm_k0mk1_k0nk1_mn_xdl_cshuffle_v1INS_13tensor_layout4gemm8RowMajorENS3_11ColumnMajorES4_NS_9f8_fnuz_tEDF16_fDF16_DF16_NS_16tensor_operation12element_wise11PassThroughES9_S9_LNS7_6device18GemmSpecializationE0ELNS_25InMemoryDataOperationEnumE0ELi1ELi256ELi256ELi128ELi32ELi8ELi8ELi16ELi16ELi8ELi4ENS_8SequenceIJLi4ELi64ELi1EEEENSD_IJLi1ELi0ELi2EEEESF_Li2ELi8ELi8ELb0ELi1ESE_SF_SF_Li2ELi8ELi8ELb0ELi1ELi1ELi1ENSD_IJLi1ELi32ELi1ELi8EEEELi4ELNS_13LoopSchedulerE0ELNS_15PipelineVersionE0EDF16_DF16_EELb1EEEvNT_8ArgumentE
		.amdhsa_group_segment_fixed_size 24672
		.amdhsa_private_segment_fixed_size 0
		.amdhsa_kernarg_size 96
		.amdhsa_user_sgpr_count 6
		.amdhsa_user_sgpr_private_segment_buffer 1
		.amdhsa_user_sgpr_dispatch_ptr 0
		.amdhsa_user_sgpr_queue_ptr 0
		.amdhsa_user_sgpr_kernarg_segment_ptr 1
		.amdhsa_user_sgpr_dispatch_id 0
		.amdhsa_user_sgpr_flat_scratch_init 0
		.amdhsa_user_sgpr_kernarg_preload_length 0
		.amdhsa_user_sgpr_kernarg_preload_offset 0
		.amdhsa_user_sgpr_private_segment_size 0
		.amdhsa_uses_dynamic_stack 0
		.amdhsa_system_sgpr_private_segment_wavefront_offset 0
		.amdhsa_system_sgpr_workgroup_id_x 1
		.amdhsa_system_sgpr_workgroup_id_y 0
		.amdhsa_system_sgpr_workgroup_id_z 0
		.amdhsa_system_sgpr_workgroup_info 0
		.amdhsa_system_vgpr_workitem_id 0
		.amdhsa_next_free_vgpr 200
		.amdhsa_next_free_sgpr 32
		.amdhsa_accum_offset 200
		.amdhsa_reserve_vcc 1
		.amdhsa_reserve_flat_scratch 0
		.amdhsa_float_round_mode_32 0
		.amdhsa_float_round_mode_16_64 0
		.amdhsa_float_denorm_mode_32 3
		.amdhsa_float_denorm_mode_16_64 3
		.amdhsa_dx10_clamp 1
		.amdhsa_ieee_mode 1
		.amdhsa_fp16_overflow 0
		.amdhsa_tg_split 0
		.amdhsa_exception_fp_ieee_invalid_op 0
		.amdhsa_exception_fp_denorm_src 0
		.amdhsa_exception_fp_ieee_div_zero 0
		.amdhsa_exception_fp_ieee_overflow 0
		.amdhsa_exception_fp_ieee_underflow 0
		.amdhsa_exception_fp_ieee_inexact 0
		.amdhsa_exception_int_div_zero 0
	.end_amdhsa_kernel
	.section	.text._ZN2ck27kernel_gemm_xdl_cshuffle_v1INS_43GridwiseGemm_k0mk1_k0nk1_mn_xdl_cshuffle_v1INS_13tensor_layout4gemm8RowMajorENS3_11ColumnMajorES4_NS_9f8_fnuz_tEDF16_fDF16_DF16_NS_16tensor_operation12element_wise11PassThroughES9_S9_LNS7_6device18GemmSpecializationE0ELNS_25InMemoryDataOperationEnumE0ELi1ELi256ELi256ELi128ELi32ELi8ELi8ELi16ELi16ELi8ELi4ENS_8SequenceIJLi4ELi64ELi1EEEENSD_IJLi1ELi0ELi2EEEESF_Li2ELi8ELi8ELb0ELi1ESE_SF_SF_Li2ELi8ELi8ELb0ELi1ELi1ELi1ENSD_IJLi1ELi32ELi1ELi8EEEELi4ELNS_13LoopSchedulerE0ELNS_15PipelineVersionE0EDF16_DF16_EELb1EEEvNT_8ArgumentE,"axG",@progbits,_ZN2ck27kernel_gemm_xdl_cshuffle_v1INS_43GridwiseGemm_k0mk1_k0nk1_mn_xdl_cshuffle_v1INS_13tensor_layout4gemm8RowMajorENS3_11ColumnMajorES4_NS_9f8_fnuz_tEDF16_fDF16_DF16_NS_16tensor_operation12element_wise11PassThroughES9_S9_LNS7_6device18GemmSpecializationE0ELNS_25InMemoryDataOperationEnumE0ELi1ELi256ELi256ELi128ELi32ELi8ELi8ELi16ELi16ELi8ELi4ENS_8SequenceIJLi4ELi64ELi1EEEENSD_IJLi1ELi0ELi2EEEESF_Li2ELi8ELi8ELb0ELi1ESE_SF_SF_Li2ELi8ELi8ELb0ELi1ELi1ELi1ENSD_IJLi1ELi32ELi1ELi8EEEELi4ELNS_13LoopSchedulerE0ELNS_15PipelineVersionE0EDF16_DF16_EELb1EEEvNT_8ArgumentE,comdat
.Lfunc_end1:
	.size	_ZN2ck27kernel_gemm_xdl_cshuffle_v1INS_43GridwiseGemm_k0mk1_k0nk1_mn_xdl_cshuffle_v1INS_13tensor_layout4gemm8RowMajorENS3_11ColumnMajorES4_NS_9f8_fnuz_tEDF16_fDF16_DF16_NS_16tensor_operation12element_wise11PassThroughES9_S9_LNS7_6device18GemmSpecializationE0ELNS_25InMemoryDataOperationEnumE0ELi1ELi256ELi256ELi128ELi32ELi8ELi8ELi16ELi16ELi8ELi4ENS_8SequenceIJLi4ELi64ELi1EEEENSD_IJLi1ELi0ELi2EEEESF_Li2ELi8ELi8ELb0ELi1ESE_SF_SF_Li2ELi8ELi8ELb0ELi1ELi1ELi1ENSD_IJLi1ELi32ELi1ELi8EEEELi4ELNS_13LoopSchedulerE0ELNS_15PipelineVersionE0EDF16_DF16_EELb1EEEvNT_8ArgumentE, .Lfunc_end1-_ZN2ck27kernel_gemm_xdl_cshuffle_v1INS_43GridwiseGemm_k0mk1_k0nk1_mn_xdl_cshuffle_v1INS_13tensor_layout4gemm8RowMajorENS3_11ColumnMajorES4_NS_9f8_fnuz_tEDF16_fDF16_DF16_NS_16tensor_operation12element_wise11PassThroughES9_S9_LNS7_6device18GemmSpecializationE0ELNS_25InMemoryDataOperationEnumE0ELi1ELi256ELi256ELi128ELi32ELi8ELi8ELi16ELi16ELi8ELi4ENS_8SequenceIJLi4ELi64ELi1EEEENSD_IJLi1ELi0ELi2EEEESF_Li2ELi8ELi8ELb0ELi1ESE_SF_SF_Li2ELi8ELi8ELb0ELi1ELi1ELi1ENSD_IJLi1ELi32ELi1ELi8EEEELi4ELNS_13LoopSchedulerE0ELNS_15PipelineVersionE0EDF16_DF16_EELb1EEEvNT_8ArgumentE
                                        ; -- End function
	.section	.AMDGPU.csdata,"",@progbits
; Kernel info:
; codeLenInByte = 21888
; NumSgprs: 36
; NumVgprs: 200
; NumAgprs: 0
; TotalNumVgprs: 200
; ScratchSize: 0
; MemoryBound: 0
; FloatMode: 240
; IeeeMode: 1
; LDSByteSize: 24672 bytes/workgroup (compile time only)
; SGPRBlocks: 4
; VGPRBlocks: 24
; NumSGPRsForWavesPerEU: 36
; NumVGPRsForWavesPerEU: 200
; AccumOffset: 200
; Occupancy: 2
; WaveLimiterHint : 0
; COMPUTE_PGM_RSRC2:SCRATCH_EN: 0
; COMPUTE_PGM_RSRC2:USER_SGPR: 6
; COMPUTE_PGM_RSRC2:TRAP_HANDLER: 0
; COMPUTE_PGM_RSRC2:TGID_X_EN: 1
; COMPUTE_PGM_RSRC2:TGID_Y_EN: 0
; COMPUTE_PGM_RSRC2:TGID_Z_EN: 0
; COMPUTE_PGM_RSRC2:TIDIG_COMP_CNT: 0
; COMPUTE_PGM_RSRC3_GFX90A:ACCUM_OFFSET: 49
; COMPUTE_PGM_RSRC3_GFX90A:TG_SPLIT: 0
	.section	.text._ZN2ck27kernel_gemm_xdl_cshuffle_v1INS_43GridwiseGemm_k0mk1_k0nk1_mn_xdl_cshuffle_v1INS_13tensor_layout4gemm8RowMajorENS3_11ColumnMajorES4_NS_9f8_fnuz_tEDF16_fDF16_DF16_NS_16tensor_operation12element_wise11PassThroughES9_S9_LNS7_6device18GemmSpecializationE0ELNS_25InMemoryDataOperationEnumE0ELi1ELi256ELi256ELi128ELi32ELi8ELi8ELi16ELi16ELi8ELi4ENS_8SequenceIJLi4ELi64ELi1EEEENSD_IJLi1ELi0ELi2EEEESF_Li2ELi8ELi8ELb0ELi1ESE_SF_SF_Li2ELi8ELi8ELb0ELi1ELi1ELi1ENSD_IJLi1ELi32ELi1ELi8EEEELi4ELNS_13LoopSchedulerE0ELNS_15PipelineVersionE0EDF16_DF16_EELb0EEEvNT_8ArgumentE,"axG",@progbits,_ZN2ck27kernel_gemm_xdl_cshuffle_v1INS_43GridwiseGemm_k0mk1_k0nk1_mn_xdl_cshuffle_v1INS_13tensor_layout4gemm8RowMajorENS3_11ColumnMajorES4_NS_9f8_fnuz_tEDF16_fDF16_DF16_NS_16tensor_operation12element_wise11PassThroughES9_S9_LNS7_6device18GemmSpecializationE0ELNS_25InMemoryDataOperationEnumE0ELi1ELi256ELi256ELi128ELi32ELi8ELi8ELi16ELi16ELi8ELi4ENS_8SequenceIJLi4ELi64ELi1EEEENSD_IJLi1ELi0ELi2EEEESF_Li2ELi8ELi8ELb0ELi1ESE_SF_SF_Li2ELi8ELi8ELb0ELi1ELi1ELi1ENSD_IJLi1ELi32ELi1ELi8EEEELi4ELNS_13LoopSchedulerE0ELNS_15PipelineVersionE0EDF16_DF16_EELb0EEEvNT_8ArgumentE,comdat
	.protected	_ZN2ck27kernel_gemm_xdl_cshuffle_v1INS_43GridwiseGemm_k0mk1_k0nk1_mn_xdl_cshuffle_v1INS_13tensor_layout4gemm8RowMajorENS3_11ColumnMajorES4_NS_9f8_fnuz_tEDF16_fDF16_DF16_NS_16tensor_operation12element_wise11PassThroughES9_S9_LNS7_6device18GemmSpecializationE0ELNS_25InMemoryDataOperationEnumE0ELi1ELi256ELi256ELi128ELi32ELi8ELi8ELi16ELi16ELi8ELi4ENS_8SequenceIJLi4ELi64ELi1EEEENSD_IJLi1ELi0ELi2EEEESF_Li2ELi8ELi8ELb0ELi1ESE_SF_SF_Li2ELi8ELi8ELb0ELi1ELi1ELi1ENSD_IJLi1ELi32ELi1ELi8EEEELi4ELNS_13LoopSchedulerE0ELNS_15PipelineVersionE0EDF16_DF16_EELb0EEEvNT_8ArgumentE ; -- Begin function _ZN2ck27kernel_gemm_xdl_cshuffle_v1INS_43GridwiseGemm_k0mk1_k0nk1_mn_xdl_cshuffle_v1INS_13tensor_layout4gemm8RowMajorENS3_11ColumnMajorES4_NS_9f8_fnuz_tEDF16_fDF16_DF16_NS_16tensor_operation12element_wise11PassThroughES9_S9_LNS7_6device18GemmSpecializationE0ELNS_25InMemoryDataOperationEnumE0ELi1ELi256ELi256ELi128ELi32ELi8ELi8ELi16ELi16ELi8ELi4ENS_8SequenceIJLi4ELi64ELi1EEEENSD_IJLi1ELi0ELi2EEEESF_Li2ELi8ELi8ELb0ELi1ESE_SF_SF_Li2ELi8ELi8ELb0ELi1ELi1ELi1ENSD_IJLi1ELi32ELi1ELi8EEEELi4ELNS_13LoopSchedulerE0ELNS_15PipelineVersionE0EDF16_DF16_EELb0EEEvNT_8ArgumentE
	.globl	_ZN2ck27kernel_gemm_xdl_cshuffle_v1INS_43GridwiseGemm_k0mk1_k0nk1_mn_xdl_cshuffle_v1INS_13tensor_layout4gemm8RowMajorENS3_11ColumnMajorES4_NS_9f8_fnuz_tEDF16_fDF16_DF16_NS_16tensor_operation12element_wise11PassThroughES9_S9_LNS7_6device18GemmSpecializationE0ELNS_25InMemoryDataOperationEnumE0ELi1ELi256ELi256ELi128ELi32ELi8ELi8ELi16ELi16ELi8ELi4ENS_8SequenceIJLi4ELi64ELi1EEEENSD_IJLi1ELi0ELi2EEEESF_Li2ELi8ELi8ELb0ELi1ESE_SF_SF_Li2ELi8ELi8ELb0ELi1ELi1ELi1ENSD_IJLi1ELi32ELi1ELi8EEEELi4ELNS_13LoopSchedulerE0ELNS_15PipelineVersionE0EDF16_DF16_EELb0EEEvNT_8ArgumentE
	.p2align	8
	.type	_ZN2ck27kernel_gemm_xdl_cshuffle_v1INS_43GridwiseGemm_k0mk1_k0nk1_mn_xdl_cshuffle_v1INS_13tensor_layout4gemm8RowMajorENS3_11ColumnMajorES4_NS_9f8_fnuz_tEDF16_fDF16_DF16_NS_16tensor_operation12element_wise11PassThroughES9_S9_LNS7_6device18GemmSpecializationE0ELNS_25InMemoryDataOperationEnumE0ELi1ELi256ELi256ELi128ELi32ELi8ELi8ELi16ELi16ELi8ELi4ENS_8SequenceIJLi4ELi64ELi1EEEENSD_IJLi1ELi0ELi2EEEESF_Li2ELi8ELi8ELb0ELi1ESE_SF_SF_Li2ELi8ELi8ELb0ELi1ELi1ELi1ENSD_IJLi1ELi32ELi1ELi8EEEELi4ELNS_13LoopSchedulerE0ELNS_15PipelineVersionE0EDF16_DF16_EELb0EEEvNT_8ArgumentE,@function
_ZN2ck27kernel_gemm_xdl_cshuffle_v1INS_43GridwiseGemm_k0mk1_k0nk1_mn_xdl_cshuffle_v1INS_13tensor_layout4gemm8RowMajorENS3_11ColumnMajorES4_NS_9f8_fnuz_tEDF16_fDF16_DF16_NS_16tensor_operation12element_wise11PassThroughES9_S9_LNS7_6device18GemmSpecializationE0ELNS_25InMemoryDataOperationEnumE0ELi1ELi256ELi256ELi128ELi32ELi8ELi8ELi16ELi16ELi8ELi4ENS_8SequenceIJLi4ELi64ELi1EEEENSD_IJLi1ELi0ELi2EEEESF_Li2ELi8ELi8ELb0ELi1ESE_SF_SF_Li2ELi8ELi8ELb0ELi1ELi1ELi1ENSD_IJLi1ELi32ELi1ELi8EEEELi4ELNS_13LoopSchedulerE0ELNS_15PipelineVersionE0EDF16_DF16_EELb0EEEvNT_8ArgumentE: ; @_ZN2ck27kernel_gemm_xdl_cshuffle_v1INS_43GridwiseGemm_k0mk1_k0nk1_mn_xdl_cshuffle_v1INS_13tensor_layout4gemm8RowMajorENS3_11ColumnMajorES4_NS_9f8_fnuz_tEDF16_fDF16_DF16_NS_16tensor_operation12element_wise11PassThroughES9_S9_LNS7_6device18GemmSpecializationE0ELNS_25InMemoryDataOperationEnumE0ELi1ELi256ELi256ELi128ELi32ELi8ELi8ELi16ELi16ELi8ELi4ENS_8SequenceIJLi4ELi64ELi1EEEENSD_IJLi1ELi0ELi2EEEESF_Li2ELi8ELi8ELb0ELi1ESE_SF_SF_Li2ELi8ELi8ELb0ELi1ELi1ELi1ENSD_IJLi1ELi32ELi1ELi8EEEELi4ELNS_13LoopSchedulerE0ELNS_15PipelineVersionE0EDF16_DF16_EELb0EEEvNT_8ArgumentE
; %bb.0:
	s_load_dwordx4 s[0:3], s[4:5], 0x10
	s_load_dwordx2 s[12:13], s[4:5], 0x20
	s_add_u32 s21, 0, 0
	v_and_b32_e32 v3, 0xfc, v0
	s_waitcnt lgkmcnt(0)
	s_addc_u32 s22, s0, -1
	s_addk_i32 s0, 0xff
	s_ashr_i32 s8, s0, 31
	s_add_i32 s7, s1, 0x7f
	s_lshr_b32 s8, s8, 24
	s_add_i32 s0, s0, s8
	s_ashr_i32 s8, s7, 31
	s_lshr_b32 s8, s8, 25
	s_add_i32 s7, s7, s8
	s_ashr_i32 s0, s0, 8
	s_ashr_i32 s7, s7, 7
	s_mul_i32 s8, s7, s0
	s_abs_i32 s8, s8
	v_cvt_f32_u32_e32 v1, s8
	s_sub_i32 s9, 0, s8
	s_ashr_i32 s16, s6, 31
	s_abs_i32 s6, s6
	v_rcp_iflag_f32_e32 v1, v1
	s_mul_i32 s18, s22, s3
	v_mul_f32_e32 v1, 0x4f7ffffe, v1
	v_cvt_u32_f32_e32 v1, v1
	v_readfirstlane_b32 s10, v1
	s_mul_i32 s9, s9, s10
	s_mul_hi_u32 s9, s10, s9
	s_add_i32 s10, s10, s9
	s_mul_hi_u32 s9, s6, s10
	s_mul_i32 s9, s9, s8
	s_sub_i32 s6, s6, s9
	s_sub_i32 s9, s6, s8
	s_cmp_ge_u32 s6, s8
	s_cselect_b32 s6, s9, s6
	s_sub_i32 s9, s6, s8
	s_cmp_ge_u32 s6, s8
	s_cselect_b32 s6, s9, s6
	s_abs_i32 s17, s7
	v_cvt_f32_u32_e32 v1, s17
	s_load_dwordx4 s[8:11], s[4:5], 0x48
	s_load_dwordx2 s[14:15], s[4:5], 0x58
	s_xor_b32 s4, s6, s16
	s_sub_i32 s4, s4, s16
	v_rcp_iflag_f32_e32 v1, v1
	s_sub_i32 s16, 0, s17
	s_abs_i32 s6, s4
	s_xor_b32 s5, s4, s7
	v_mul_f32_e32 v1, 0x4f7ffffe, v1
	v_cvt_u32_f32_e32 v1, v1
	s_ashr_i32 s5, s5, 31
	v_readfirstlane_b32 s19, v1
	s_mul_i32 s16, s16, s19
	s_mul_hi_u32 s16, s19, s16
	s_add_i32 s19, s19, s16
	s_mul_hi_u32 s16, s6, s19
	s_mul_i32 s19, s16, s17
	s_sub_i32 s6, s6, s19
	s_add_i32 s19, s16, 1
	s_sub_i32 s20, s6, s17
	s_cmp_ge_u32 s6, s17
	s_cselect_b32 s16, s19, s16
	s_cselect_b32 s6, s20, s6
	s_add_i32 s19, s16, 1
	s_cmp_ge_u32 s6, s17
	s_cselect_b32 s6, s19, s16
	s_xor_b32 s6, s6, s5
	s_sub_i32 s5, s6, s5
	s_lshr_b32 s6, s0, 29
	s_add_i32 s6, s0, s6
	s_and_b32 s6, s6, -8
	s_sub_i32 s0, s0, s6
	s_cmp_ge_i32 s5, s6
	s_cselect_b32 s0, s0, 8
	s_abs_i32 s16, s0
	v_cvt_f32_u32_e32 v1, s16
	s_mul_i32 s6, s5, s7
	s_sub_i32 s4, s4, s6
	s_ashr_i32 s6, s5, 31
	v_rcp_iflag_f32_e32 v1, v1
	s_lshr_b32 s6, s6, 29
	s_add_i32 s6, s5, s6
	s_and_b32 s6, s6, -8
	v_mul_f32_e32 v1, 0x4f7ffffe, v1
	v_cvt_u32_f32_e32 v1, v1
	s_sub_i32 s6, s5, s6
	s_sub_i32 s19, 0, s16
	s_mul_i32 s7, s6, s7
	v_readfirstlane_b32 s20, v1
	s_mul_i32 s19, s19, s20
	s_add_i32 s7, s7, s4
	s_mul_hi_u32 s19, s20, s19
	s_abs_i32 s17, s7
	s_add_i32 s20, s20, s19
	s_mul_hi_u32 s19, s17, s20
	s_mul_i32 s20, s19, s16
	s_xor_b32 s4, s7, s0
	s_sub_i32 s17, s17, s20
	s_ashr_i32 s4, s4, 31
	s_add_i32 s20, s19, 1
	s_sub_i32 s23, s17, s16
	s_cmp_ge_u32 s17, s16
	s_cselect_b32 s19, s20, s19
	s_cselect_b32 s17, s23, s17
	s_add_i32 s20, s19, 1
	s_cmp_ge_u32 s17, s16
	s_cselect_b32 s16, s20, s19
	s_xor_b32 s16, s16, s4
	s_sub_i32 s16, s16, s4
	s_mul_i32 s0, s16, s0
	s_sub_i32 s0, s7, s0
	s_add_i32 s0, s0, s5
	s_sub_i32 s0, s0, s6
	s_lshl_b32 s4, s0, 8
	v_and_b32_e32 v1, 3, v0
	v_add_u32_e32 v4, s4, v3
	v_lshlrev_b32_e32 v2, 3, v1
	v_mad_u64_u32 v[4:5], s[4:5], v4, s3, v[2:3]
	s_add_i32 s6, s2, s18
	s_mov_b32 s7, 0x20000
	s_waitcnt lgkmcnt(0)
	s_mov_b32 s4, s8
	s_mov_b32 s5, s9
	buffer_load_dwordx2 v[6:7], v4, s[4:7], 0 offen
	s_movk_i32 s8, 0x7f
	s_lshl_b32 s20, s16, 7
                                        ; implicit-def: $sgpr23
	s_waitcnt vmcnt(0)
	v_and_b32_e32 v5, 0xff, v6
	v_cmp_lt_i16_e32 vcc, s8, v5
	s_mov_b64 s[8:9], 0
	s_and_saveexec_b64 s[16:17], vcc
	s_xor_b64 s[16:17], exec, s[16:17]
	s_cbranch_execnz .LBB2_129
; %bb.1:
	s_or_saveexec_b64 s[16:17], s[16:17]
	v_mov_b32_e32 v8, s23
	s_xor_b64 exec, exec, s[16:17]
	s_cbranch_execnz .LBB2_132
.LBB2_2:
	s_or_b64 exec, exec, s[16:17]
	s_and_saveexec_b64 s[16:17], s[8:9]
	s_cbranch_execz .LBB2_4
.LBB2_3:
	v_and_b32_e32 v5, 7, v6
	v_ffbh_u32_e32 v10, v5
	v_min_u32_e32 v10, 32, v10
	v_lshrrev_b16_e32 v8, 3, v6
	v_subrev_u32_e32 v11, 28, v10
	v_and_b32_e32 v8, 15, v8
	v_lshlrev_b32_e32 v11, v11, v6
	v_and_b32_e32 v9, 0xffff, v8
	v_sub_u32_e32 v10, 29, v10
	v_and_b32_e32 v11, 7, v11
	v_cmp_eq_u16_e32 vcc, 0, v8
	v_cndmask_b32_e32 v5, v5, v11, vcc
	v_cndmask_b32_e32 v8, v9, v10, vcc
	v_lshlrev_b32_e32 v9, 8, v6
	v_mov_b32_e32 v10, 0x1c00
	v_lshlrev_b32_e32 v5, 7, v5
	v_and_b32_e32 v9, 0x8000, v9
	v_lshl_add_u32 v8, v8, 10, v10
	v_or3_b32 v8, v9, v8, v5
.LBB2_4:
	s_or_b64 exec, exec, s[16:17]
	v_lshrrev_b32_e32 v5, 8, v6
	s_movk_i32 s8, 0x7f
	v_cmp_gt_i16_sdwa s[16:17], v5, s8 src0_sel:BYTE_0 src1_sel:DWORD
	s_mov_b64 s[8:9], 0
                                        ; implicit-def: $sgpr23
	s_and_saveexec_b64 s[18:19], s[16:17]
	s_xor_b64 s[16:17], exec, s[18:19]
	s_cbranch_execnz .LBB2_133
; %bb.5:
	s_or_saveexec_b64 s[16:17], s[16:17]
	v_mov_b32_e32 v9, s23
	s_xor_b64 exec, exec, s[16:17]
	s_cbranch_execnz .LBB2_136
.LBB2_6:
	s_or_b64 exec, exec, s[16:17]
	s_and_saveexec_b64 s[16:17], s[8:9]
	s_cbranch_execz .LBB2_8
.LBB2_7:
	v_bfe_u32 v9, v6, 8, 3
	v_ffbh_u32_e32 v13, v9
	v_min_u32_e32 v13, 32, v13
	v_lshrrev_b16_e32 v11, 3, v5
	v_subrev_u32_e32 v14, 28, v13
	v_and_b32_e32 v11, 15, v11
	v_lshlrev_b32_e32 v14, v14, v5
	v_and_b32_e32 v12, 0xffff, v11
	v_sub_u32_e32 v13, 29, v13
	v_and_b32_e32 v14, 7, v14
	v_cmp_eq_u16_e32 vcc, 0, v11
	v_cndmask_b32_e32 v9, v9, v14, vcc
	v_cndmask_b32_e32 v11, v12, v13, vcc
	v_mov_b32_e32 v12, 0x1c00
	v_and_b32_e32 v10, 0x8000, v6
	v_lshlrev_b32_e32 v9, 7, v9
	v_lshl_add_u32 v11, v11, 10, v12
	v_or3_b32 v9, v10, v11, v9
.LBB2_8:
	s_or_b64 exec, exec, s[16:17]
	s_movk_i32 s8, 0xff
	v_and_b32_sdwa v11, v6, s8 dst_sel:DWORD dst_unused:UNUSED_PAD src0_sel:WORD_1 src1_sel:DWORD
	s_movk_i32 s8, 0x7f
	v_cmp_lt_i16_e32 vcc, s8, v11
	s_mov_b64 s[8:9], 0
                                        ; implicit-def: $sgpr23
	s_and_saveexec_b64 s[16:17], vcc
	s_xor_b64 s[16:17], exec, s[16:17]
	s_cbranch_execnz .LBB2_137
; %bb.9:
	s_or_saveexec_b64 s[16:17], s[16:17]
	v_mov_b32_e32 v10, s23
	s_xor_b64 exec, exec, s[16:17]
	s_cbranch_execnz .LBB2_140
.LBB2_10:
	s_or_b64 exec, exec, s[16:17]
	s_and_saveexec_b64 s[16:17], s[8:9]
	s_cbranch_execz .LBB2_12
.LBB2_11:
	v_bfe_u32 v10, v6, 16, 3
	v_ffbh_u32_e32 v13, v10
	v_min_u32_e32 v13, 32, v13
	v_lshrrev_b32_e32 v11, 19, v6
	v_subrev_u32_e32 v14, 28, v13
	v_and_b32_e32 v11, 15, v11
	v_lshlrev_b32_sdwa v14, v14, v6 dst_sel:DWORD dst_unused:UNUSED_PAD src0_sel:DWORD src1_sel:WORD_1
	v_bfe_u32 v12, v6, 19, 4
	v_sub_u32_e32 v13, 29, v13
	v_and_b32_e32 v14, 7, v14
	v_cmp_eq_u16_e32 vcc, 0, v11
	v_cndmask_b32_e32 v10, v10, v14, vcc
	v_cndmask_b32_e32 v11, v12, v13, vcc
	v_mov_b32_e32 v12, 0x1c00
	v_lshlrev_b32_e32 v10, 7, v10
	v_and_b32_e32 v5, 0x8000, v5
	v_lshl_add_u32 v11, v11, 10, v12
	v_or3_b32 v10, v5, v11, v10
.LBB2_12:
	s_or_b64 exec, exec, s[16:17]
	s_movk_i32 s8, 0x7f
	v_cmp_gt_i16_sdwa s[16:17], v6, s8 src0_sel:BYTE_3 src1_sel:DWORD
	s_mov_b64 s[8:9], 0
                                        ; implicit-def: $sgpr23
	s_and_saveexec_b64 s[18:19], s[16:17]
	s_xor_b64 s[16:17], exec, s[18:19]
	s_cbranch_execnz .LBB2_141
; %bb.13:
	s_or_saveexec_b64 s[16:17], s[16:17]
	v_mov_b32_e32 v11, s23
	s_xor_b64 exec, exec, s[16:17]
	s_cbranch_execnz .LBB2_144
.LBB2_14:
	s_or_b64 exec, exec, s[16:17]
	s_and_saveexec_b64 s[16:17], s[8:9]
	s_cbranch_execz .LBB2_16
.LBB2_15:
	v_bfe_u32 v5, v6, 24, 3
	v_ffbh_u32_e32 v13, v5
	v_min_u32_e32 v13, 32, v13
	v_lshrrev_b32_e32 v11, 27, v6
	v_subrev_u32_e32 v14, 28, v13
	v_and_b32_e32 v11, 15, v11
	v_lshlrev_b32_sdwa v14, v14, v6 dst_sel:DWORD dst_unused:UNUSED_PAD src0_sel:DWORD src1_sel:BYTE_3
	v_bfe_u32 v12, v6, 27, 4
	v_sub_u32_e32 v13, 29, v13
	v_and_b32_e32 v14, 7, v14
	v_cmp_eq_u16_e32 vcc, 0, v11
	v_cndmask_b32_e32 v5, v5, v14, vcc
	v_cndmask_b32_e32 v11, v12, v13, vcc
	s_mov_b32 s8, 0x8000
	v_mov_b32_e32 v12, 0x1c00
	v_lshlrev_b32_e32 v5, 7, v5
	v_and_b32_sdwa v6, v6, s8 dst_sel:DWORD dst_unused:UNUSED_PAD src0_sel:WORD_1 src1_sel:DWORD
	v_lshl_add_u32 v11, v11, 10, v12
	v_or3_b32 v11, v6, v11, v5
.LBB2_16:
	s_or_b64 exec, exec, s[16:17]
	s_movk_i32 s8, 0x7f
	v_cmp_gt_i16_sdwa s[16:17], v7, s8 src0_sel:BYTE_0 src1_sel:DWORD
	s_mov_b64 s[8:9], 0
                                        ; implicit-def: $sgpr23
	s_and_saveexec_b64 s[18:19], s[16:17]
	s_xor_b64 s[16:17], exec, s[18:19]
	s_cbranch_execnz .LBB2_145
; %bb.17:
	s_or_saveexec_b64 s[16:17], s[16:17]
	v_mov_b32_e32 v6, s23
	s_xor_b64 exec, exec, s[16:17]
	s_cbranch_execnz .LBB2_148
.LBB2_18:
	s_or_b64 exec, exec, s[16:17]
	s_and_saveexec_b64 s[16:17], s[8:9]
	s_cbranch_execz .LBB2_20
.LBB2_19:
	v_and_b32_e32 v5, 7, v7
	v_ffbh_u32_e32 v13, v5
	v_min_u32_e32 v13, 32, v13
	v_lshrrev_b16_e32 v6, 3, v7
	v_subrev_u32_e32 v14, 28, v13
	v_and_b32_e32 v6, 15, v6
	v_lshlrev_b32_e32 v14, v14, v7
	v_and_b32_e32 v12, 0xffff, v6
	v_sub_u32_e32 v13, 29, v13
	v_and_b32_e32 v14, 7, v14
	v_cmp_eq_u16_e32 vcc, 0, v6
	v_cndmask_b32_e32 v5, v5, v14, vcc
	v_cndmask_b32_e32 v6, v12, v13, vcc
	v_lshlrev_b32_e32 v12, 8, v7
	v_mov_b32_e32 v13, 0x1c00
	v_lshlrev_b32_e32 v5, 7, v5
	v_and_b32_e32 v12, 0x8000, v12
	v_lshl_add_u32 v6, v6, 10, v13
	v_or3_b32 v6, v12, v6, v5
.LBB2_20:
	s_or_b64 exec, exec, s[16:17]
	v_lshrrev_b32_e32 v5, 8, v7
	s_movk_i32 s8, 0x7f
	v_cmp_gt_i16_sdwa s[16:17], v5, s8 src0_sel:BYTE_0 src1_sel:DWORD
	s_mov_b64 s[8:9], 0
                                        ; implicit-def: $sgpr23
	s_and_saveexec_b64 s[18:19], s[16:17]
	s_xor_b64 s[16:17], exec, s[18:19]
	s_cbranch_execnz .LBB2_149
; %bb.21:
	s_or_saveexec_b64 s[16:17], s[16:17]
	v_mov_b32_e32 v12, s23
	s_xor_b64 exec, exec, s[16:17]
	s_cbranch_execnz .LBB2_152
.LBB2_22:
	s_or_b64 exec, exec, s[16:17]
	s_and_saveexec_b64 s[16:17], s[8:9]
	s_cbranch_execz .LBB2_24
.LBB2_23:
	v_bfe_u32 v12, v7, 8, 3
	v_ffbh_u32_e32 v16, v12
	v_min_u32_e32 v16, 32, v16
	v_lshrrev_b16_e32 v14, 3, v5
	v_subrev_u32_e32 v17, 28, v16
	v_and_b32_e32 v14, 15, v14
	v_lshlrev_b32_e32 v17, v17, v5
	v_and_b32_e32 v15, 0xffff, v14
	v_sub_u32_e32 v16, 29, v16
	v_and_b32_e32 v17, 7, v17
	v_cmp_eq_u16_e32 vcc, 0, v14
	v_cndmask_b32_e32 v12, v12, v17, vcc
	v_cndmask_b32_e32 v14, v15, v16, vcc
	v_mov_b32_e32 v15, 0x1c00
	v_and_b32_e32 v13, 0x8000, v7
	v_lshlrev_b32_e32 v12, 7, v12
	v_lshl_add_u32 v14, v14, 10, v15
	v_or3_b32 v12, v13, v14, v12
.LBB2_24:
	s_or_b64 exec, exec, s[16:17]
	s_movk_i32 s8, 0xff
	v_and_b32_sdwa v14, v7, s8 dst_sel:DWORD dst_unused:UNUSED_PAD src0_sel:WORD_1 src1_sel:DWORD
	s_movk_i32 s8, 0x7f
	v_cmp_lt_i16_e32 vcc, s8, v14
	s_mov_b64 s[8:9], 0
                                        ; implicit-def: $sgpr23
	s_and_saveexec_b64 s[16:17], vcc
	s_xor_b64 s[16:17], exec, s[16:17]
	s_cbranch_execnz .LBB2_153
; %bb.25:
	s_or_saveexec_b64 s[16:17], s[16:17]
	v_mov_b32_e32 v13, s23
	s_xor_b64 exec, exec, s[16:17]
	s_cbranch_execnz .LBB2_156
.LBB2_26:
	s_or_b64 exec, exec, s[16:17]
	s_and_saveexec_b64 s[16:17], s[8:9]
	s_cbranch_execz .LBB2_28
.LBB2_27:
	v_bfe_u32 v13, v7, 16, 3
	v_ffbh_u32_e32 v16, v13
	v_min_u32_e32 v16, 32, v16
	v_lshrrev_b32_e32 v14, 19, v7
	v_subrev_u32_e32 v17, 28, v16
	v_and_b32_e32 v14, 15, v14
	v_lshlrev_b32_sdwa v17, v17, v7 dst_sel:DWORD dst_unused:UNUSED_PAD src0_sel:DWORD src1_sel:WORD_1
	v_bfe_u32 v15, v7, 19, 4
	v_sub_u32_e32 v16, 29, v16
	v_and_b32_e32 v17, 7, v17
	v_cmp_eq_u16_e32 vcc, 0, v14
	v_cndmask_b32_e32 v13, v13, v17, vcc
	v_cndmask_b32_e32 v14, v15, v16, vcc
	v_mov_b32_e32 v15, 0x1c00
	v_lshlrev_b32_e32 v13, 7, v13
	v_and_b32_e32 v5, 0x8000, v5
	v_lshl_add_u32 v14, v14, 10, v15
	v_or3_b32 v13, v5, v14, v13
.LBB2_28:
	s_or_b64 exec, exec, s[16:17]
	s_movk_i32 s8, 0x7f
	v_cmp_gt_i16_sdwa s[16:17], v7, s8 src0_sel:BYTE_3 src1_sel:DWORD
	s_mov_b64 s[8:9], 0
                                        ; implicit-def: $sgpr23
	s_and_saveexec_b64 s[18:19], s[16:17]
	s_xor_b64 s[16:17], exec, s[18:19]
	s_cbranch_execnz .LBB2_157
; %bb.29:
	s_or_saveexec_b64 s[16:17], s[16:17]
	v_mov_b32_e32 v14, s23
	s_xor_b64 exec, exec, s[16:17]
	s_cbranch_execnz .LBB2_160
.LBB2_30:
	s_or_b64 exec, exec, s[16:17]
	s_and_saveexec_b64 s[16:17], s[8:9]
	s_cbranch_execz .LBB2_32
.LBB2_31:
	v_bfe_u32 v5, v7, 24, 3
	v_ffbh_u32_e32 v16, v5
	v_min_u32_e32 v16, 32, v16
	v_lshrrev_b32_e32 v14, 27, v7
	v_subrev_u32_e32 v17, 28, v16
	v_and_b32_e32 v14, 15, v14
	v_lshlrev_b32_sdwa v17, v17, v7 dst_sel:DWORD dst_unused:UNUSED_PAD src0_sel:DWORD src1_sel:BYTE_3
	v_bfe_u32 v15, v7, 27, 4
	v_sub_u32_e32 v16, 29, v16
	v_and_b32_e32 v17, 7, v17
	v_cmp_eq_u16_e32 vcc, 0, v14
	v_cndmask_b32_e32 v5, v5, v17, vcc
	v_cndmask_b32_e32 v14, v15, v16, vcc
	s_mov_b32 s8, 0x8000
	v_mov_b32_e32 v15, 0x1c00
	v_lshlrev_b32_e32 v5, 7, v5
	v_and_b32_sdwa v7, v7, s8 dst_sel:DWORD dst_unused:UNUSED_PAD src0_sel:WORD_1 src1_sel:DWORD
	v_lshl_add_u32 v14, v14, 10, v15
	v_or3_b32 v14, v7, v14, v5
.LBB2_32:
	s_or_b64 exec, exec, s[16:17]
	v_add_u32_e32 v22, s3, v4
	buffer_load_dwordx2 v[4:5], v22, s[4:7], 0 offen
	s_movk_i32 s8, 0x7f
                                        ; implicit-def: $sgpr23
	s_waitcnt vmcnt(0)
	v_and_b32_e32 v15, 0xff, v4
	v_cmp_lt_i16_e32 vcc, s8, v15
	s_mov_b64 s[8:9], 0
	s_and_saveexec_b64 s[16:17], vcc
	s_xor_b64 s[16:17], exec, s[16:17]
	s_cbranch_execnz .LBB2_161
; %bb.33:
	s_or_saveexec_b64 s[16:17], s[16:17]
	v_mov_b32_e32 v7, s23
	s_xor_b64 exec, exec, s[16:17]
	s_cbranch_execnz .LBB2_164
.LBB2_34:
	s_or_b64 exec, exec, s[16:17]
	s_and_saveexec_b64 s[16:17], s[8:9]
	s_cbranch_execz .LBB2_36
.LBB2_35:
	v_and_b32_e32 v7, 7, v4
	v_ffbh_u32_e32 v17, v7
	v_min_u32_e32 v17, 32, v17
	v_lshrrev_b16_e32 v15, 3, v4
	v_subrev_u32_e32 v18, 28, v17
	v_and_b32_e32 v15, 15, v15
	v_lshlrev_b32_e32 v18, v18, v4
	v_and_b32_e32 v16, 0xffff, v15
	v_sub_u32_e32 v17, 29, v17
	v_and_b32_e32 v18, 7, v18
	v_cmp_eq_u16_e32 vcc, 0, v15
	v_cndmask_b32_e32 v7, v7, v18, vcc
	v_cndmask_b32_e32 v15, v16, v17, vcc
	v_lshlrev_b32_e32 v16, 8, v4
	v_mov_b32_e32 v17, 0x1c00
	v_lshlrev_b32_e32 v7, 7, v7
	v_and_b32_e32 v16, 0x8000, v16
	v_lshl_add_u32 v15, v15, 10, v17
	v_or3_b32 v7, v16, v15, v7
.LBB2_36:
	s_or_b64 exec, exec, s[16:17]
	v_lshrrev_b32_e32 v17, 8, v4
	s_movk_i32 s8, 0x7f
	v_cmp_gt_i16_sdwa s[16:17], v17, s8 src0_sel:BYTE_0 src1_sel:DWORD
	s_mov_b64 s[8:9], 0
                                        ; implicit-def: $sgpr23
	s_and_saveexec_b64 s[18:19], s[16:17]
	s_xor_b64 s[16:17], exec, s[18:19]
	s_cbranch_execnz .LBB2_165
; %bb.37:
	s_or_saveexec_b64 s[16:17], s[16:17]
	v_mov_b32_e32 v15, s23
	s_xor_b64 exec, exec, s[16:17]
	s_cbranch_execnz .LBB2_168
.LBB2_38:
	s_or_b64 exec, exec, s[16:17]
	s_and_saveexec_b64 s[16:17], s[8:9]
	s_cbranch_execz .LBB2_40
.LBB2_39:
	v_bfe_u32 v15, v4, 8, 3
	v_ffbh_u32_e32 v20, v15
	v_min_u32_e32 v20, 32, v20
	v_lshrrev_b16_e32 v18, 3, v17
	v_subrev_u32_e32 v21, 28, v20
	v_and_b32_e32 v18, 15, v18
	v_lshlrev_b32_e32 v21, v21, v17
	v_and_b32_e32 v19, 0xffff, v18
	v_sub_u32_e32 v20, 29, v20
	v_and_b32_e32 v21, 7, v21
	v_cmp_eq_u16_e32 vcc, 0, v18
	v_cndmask_b32_e32 v15, v15, v21, vcc
	v_cndmask_b32_e32 v18, v19, v20, vcc
	v_mov_b32_e32 v19, 0x1c00
	v_and_b32_e32 v16, 0x8000, v4
	v_lshlrev_b32_e32 v15, 7, v15
	v_lshl_add_u32 v18, v18, 10, v19
	v_or3_b32 v15, v16, v18, v15
.LBB2_40:
	s_or_b64 exec, exec, s[16:17]
	s_movk_i32 s8, 0xff
	v_and_b32_sdwa v18, v4, s8 dst_sel:DWORD dst_unused:UNUSED_PAD src0_sel:WORD_1 src1_sel:DWORD
	s_movk_i32 s8, 0x7f
	v_cmp_lt_i16_e32 vcc, s8, v18
	s_mov_b64 s[8:9], 0
                                        ; implicit-def: $sgpr23
	s_and_saveexec_b64 s[16:17], vcc
	s_xor_b64 s[16:17], exec, s[16:17]
	s_cbranch_execnz .LBB2_169
; %bb.41:
	s_or_saveexec_b64 s[16:17], s[16:17]
	v_mov_b32_e32 v16, s23
	s_xor_b64 exec, exec, s[16:17]
	s_cbranch_execnz .LBB2_172
.LBB2_42:
	s_or_b64 exec, exec, s[16:17]
	s_and_saveexec_b64 s[16:17], s[8:9]
	s_cbranch_execz .LBB2_44
.LBB2_43:
	v_bfe_u32 v16, v4, 16, 3
	v_ffbh_u32_e32 v20, v16
	v_min_u32_e32 v20, 32, v20
	v_lshrrev_b32_e32 v18, 19, v4
	v_subrev_u32_e32 v21, 28, v20
	v_and_b32_e32 v18, 15, v18
	v_lshlrev_b32_sdwa v21, v21, v4 dst_sel:DWORD dst_unused:UNUSED_PAD src0_sel:DWORD src1_sel:WORD_1
	v_bfe_u32 v19, v4, 19, 4
	v_sub_u32_e32 v20, 29, v20
	v_and_b32_e32 v21, 7, v21
	v_cmp_eq_u16_e32 vcc, 0, v18
	v_cndmask_b32_e32 v16, v16, v21, vcc
	v_cndmask_b32_e32 v18, v19, v20, vcc
	v_mov_b32_e32 v19, 0x1c00
	v_lshlrev_b32_e32 v16, 7, v16
	v_and_b32_e32 v17, 0x8000, v17
	v_lshl_add_u32 v18, v18, 10, v19
	v_or3_b32 v16, v17, v18, v16
.LBB2_44:
	s_or_b64 exec, exec, s[16:17]
	s_movk_i32 s8, 0x7f
	v_cmp_gt_i16_sdwa s[16:17], v4, s8 src0_sel:BYTE_3 src1_sel:DWORD
	s_mov_b64 s[8:9], 0
                                        ; implicit-def: $sgpr23
	s_and_saveexec_b64 s[18:19], s[16:17]
	s_xor_b64 s[16:17], exec, s[18:19]
	s_cbranch_execnz .LBB2_173
; %bb.45:
	s_or_saveexec_b64 s[16:17], s[16:17]
	v_mov_b32_e32 v17, s23
	s_xor_b64 exec, exec, s[16:17]
	s_cbranch_execnz .LBB2_176
.LBB2_46:
	s_or_b64 exec, exec, s[16:17]
	s_and_saveexec_b64 s[16:17], s[8:9]
	s_cbranch_execz .LBB2_48
.LBB2_47:
	v_bfe_u32 v17, v4, 24, 3
	v_ffbh_u32_e32 v20, v17
	v_min_u32_e32 v20, 32, v20
	v_lshrrev_b32_e32 v18, 27, v4
	v_subrev_u32_e32 v21, 28, v20
	v_and_b32_e32 v18, 15, v18
	v_lshlrev_b32_sdwa v21, v21, v4 dst_sel:DWORD dst_unused:UNUSED_PAD src0_sel:DWORD src1_sel:BYTE_3
	v_bfe_u32 v19, v4, 27, 4
	v_sub_u32_e32 v20, 29, v20
	v_and_b32_e32 v21, 7, v21
	v_cmp_eq_u16_e32 vcc, 0, v18
	v_cndmask_b32_e32 v17, v17, v21, vcc
	v_cndmask_b32_e32 v18, v19, v20, vcc
	s_mov_b32 s8, 0x8000
	v_mov_b32_e32 v19, 0x1c00
	v_lshlrev_b32_e32 v17, 7, v17
	v_and_b32_sdwa v4, v4, s8 dst_sel:DWORD dst_unused:UNUSED_PAD src0_sel:WORD_1 src1_sel:DWORD
	v_lshl_add_u32 v18, v18, 10, v19
	v_or3_b32 v17, v4, v18, v17
.LBB2_48:
	s_or_b64 exec, exec, s[16:17]
	s_movk_i32 s8, 0x7f
	v_cmp_gt_i16_sdwa s[16:17], v5, s8 src0_sel:BYTE_0 src1_sel:DWORD
	s_mov_b64 s[8:9], 0
                                        ; implicit-def: $sgpr23
	s_and_saveexec_b64 s[18:19], s[16:17]
	s_xor_b64 s[16:17], exec, s[18:19]
	s_cbranch_execnz .LBB2_177
; %bb.49:
	s_or_saveexec_b64 s[16:17], s[16:17]
	v_mov_b32_e32 v18, s23
	s_xor_b64 exec, exec, s[16:17]
	s_cbranch_execnz .LBB2_180
.LBB2_50:
	s_or_b64 exec, exec, s[16:17]
	s_and_saveexec_b64 s[16:17], s[8:9]
	s_cbranch_execz .LBB2_52
.LBB2_51:
	v_and_b32_e32 v4, 7, v5
	v_ffbh_u32_e32 v20, v4
	v_min_u32_e32 v20, 32, v20
	v_lshrrev_b16_e32 v18, 3, v5
	v_subrev_u32_e32 v21, 28, v20
	v_and_b32_e32 v18, 15, v18
	v_lshlrev_b32_e32 v21, v21, v5
	v_and_b32_e32 v19, 0xffff, v18
	v_sub_u32_e32 v20, 29, v20
	v_and_b32_e32 v21, 7, v21
	v_cmp_eq_u16_e32 vcc, 0, v18
	v_cndmask_b32_e32 v4, v4, v21, vcc
	v_cndmask_b32_e32 v18, v19, v20, vcc
	v_lshlrev_b32_e32 v19, 8, v5
	v_mov_b32_e32 v20, 0x1c00
	v_lshlrev_b32_e32 v4, 7, v4
	v_and_b32_e32 v19, 0x8000, v19
	v_lshl_add_u32 v18, v18, 10, v20
	v_or3_b32 v18, v19, v18, v4
.LBB2_52:
	s_or_b64 exec, exec, s[16:17]
	v_lshrrev_b32_e32 v4, 8, v5
	s_movk_i32 s8, 0x7f
	v_cmp_gt_i16_sdwa s[16:17], v4, s8 src0_sel:BYTE_0 src1_sel:DWORD
	s_mov_b64 s[8:9], 0
                                        ; implicit-def: $sgpr23
	s_and_saveexec_b64 s[18:19], s[16:17]
	s_xor_b64 s[16:17], exec, s[18:19]
	s_cbranch_execnz .LBB2_181
; %bb.53:
	s_or_saveexec_b64 s[16:17], s[16:17]
	v_mov_b32_e32 v19, s23
	s_xor_b64 exec, exec, s[16:17]
	s_cbranch_execnz .LBB2_184
.LBB2_54:
	s_or_b64 exec, exec, s[16:17]
	s_and_saveexec_b64 s[16:17], s[8:9]
	s_cbranch_execz .LBB2_56
.LBB2_55:
	v_bfe_u32 v19, v5, 8, 3
	v_ffbh_u32_e32 v24, v19
	v_min_u32_e32 v24, 32, v24
	v_lshrrev_b16_e32 v21, 3, v4
	v_subrev_u32_e32 v25, 28, v24
	v_and_b32_e32 v21, 15, v21
	v_lshlrev_b32_e32 v25, v25, v4
	v_and_b32_e32 v23, 0xffff, v21
	v_sub_u32_e32 v24, 29, v24
	v_and_b32_e32 v25, 7, v25
	v_cmp_eq_u16_e32 vcc, 0, v21
	v_cndmask_b32_e32 v19, v19, v25, vcc
	v_cndmask_b32_e32 v21, v23, v24, vcc
	v_mov_b32_e32 v23, 0x1c00
	v_and_b32_e32 v20, 0x8000, v5
	v_lshlrev_b32_e32 v19, 7, v19
	v_lshl_add_u32 v21, v21, 10, v23
	v_or3_b32 v19, v20, v21, v19
.LBB2_56:
	s_or_b64 exec, exec, s[16:17]
	s_movk_i32 s8, 0xff
	v_and_b32_sdwa v21, v5, s8 dst_sel:DWORD dst_unused:UNUSED_PAD src0_sel:WORD_1 src1_sel:DWORD
	s_movk_i32 s8, 0x7f
	v_cmp_lt_i16_e32 vcc, s8, v21
	s_mov_b64 s[8:9], 0
                                        ; implicit-def: $sgpr23
	s_and_saveexec_b64 s[16:17], vcc
	s_xor_b64 s[16:17], exec, s[16:17]
	s_cbranch_execnz .LBB2_185
; %bb.57:
	s_or_saveexec_b64 s[16:17], s[16:17]
	v_mov_b32_e32 v20, s23
	s_xor_b64 exec, exec, s[16:17]
	s_cbranch_execnz .LBB2_188
.LBB2_58:
	s_or_b64 exec, exec, s[16:17]
	s_and_saveexec_b64 s[16:17], s[8:9]
	s_cbranch_execz .LBB2_60
.LBB2_59:
	v_bfe_u32 v20, v5, 16, 3
	v_ffbh_u32_e32 v24, v20
	v_min_u32_e32 v24, 32, v24
	v_lshrrev_b32_e32 v21, 19, v5
	v_subrev_u32_e32 v25, 28, v24
	v_and_b32_e32 v21, 15, v21
	v_lshlrev_b32_sdwa v25, v25, v5 dst_sel:DWORD dst_unused:UNUSED_PAD src0_sel:DWORD src1_sel:WORD_1
	v_bfe_u32 v23, v5, 19, 4
	v_sub_u32_e32 v24, 29, v24
	v_and_b32_e32 v25, 7, v25
	v_cmp_eq_u16_e32 vcc, 0, v21
	v_cndmask_b32_e32 v20, v20, v25, vcc
	v_cndmask_b32_e32 v21, v23, v24, vcc
	v_mov_b32_e32 v23, 0x1c00
	v_lshlrev_b32_e32 v20, 7, v20
	v_and_b32_e32 v4, 0x8000, v4
	v_lshl_add_u32 v21, v21, 10, v23
	v_or3_b32 v20, v4, v21, v20
.LBB2_60:
	s_or_b64 exec, exec, s[16:17]
	s_movk_i32 s8, 0x7f
	v_cmp_gt_i16_sdwa s[16:17], v5, s8 src0_sel:BYTE_3 src1_sel:DWORD
	s_mov_b64 s[8:9], 0
                                        ; implicit-def: $sgpr23
	s_and_saveexec_b64 s[18:19], s[16:17]
	s_xor_b64 s[16:17], exec, s[18:19]
	s_cbranch_execnz .LBB2_189
; %bb.61:
	s_or_saveexec_b64 s[16:17], s[16:17]
	v_mov_b32_e32 v21, s23
	s_xor_b64 exec, exec, s[16:17]
	s_cbranch_execnz .LBB2_192
.LBB2_62:
	s_or_b64 exec, exec, s[16:17]
	s_and_saveexec_b64 s[16:17], s[8:9]
	s_cbranch_execz .LBB2_64
.LBB2_63:
	v_bfe_u32 v4, v5, 24, 3
	v_ffbh_u32_e32 v24, v4
	v_min_u32_e32 v24, 32, v24
	v_lshrrev_b32_e32 v21, 27, v5
	v_subrev_u32_e32 v25, 28, v24
	v_and_b32_e32 v21, 15, v21
	v_lshlrev_b32_sdwa v25, v25, v5 dst_sel:DWORD dst_unused:UNUSED_PAD src0_sel:DWORD src1_sel:BYTE_3
	v_bfe_u32 v23, v5, 27, 4
	v_sub_u32_e32 v24, 29, v24
	v_and_b32_e32 v25, 7, v25
	v_cmp_eq_u16_e32 vcc, 0, v21
	v_cndmask_b32_e32 v4, v4, v25, vcc
	v_cndmask_b32_e32 v21, v23, v24, vcc
	s_mov_b32 s8, 0x8000
	v_mov_b32_e32 v23, 0x1c00
	v_lshlrev_b32_e32 v4, 7, v4
	v_and_b32_sdwa v5, v5, s8 dst_sel:DWORD dst_unused:UNUSED_PAD src0_sel:WORD_1 src1_sel:DWORD
	v_lshl_add_u32 v21, v21, 10, v23
	v_or3_b32 v21, v5, v21, v4
.LBB2_64:
	s_or_b64 exec, exec, s[16:17]
	v_add_u32_e32 v30, s3, v22
	buffer_load_dwordx2 v[4:5], v30, s[4:7], 0 offen
	s_movk_i32 s8, 0x7f
                                        ; implicit-def: $sgpr23
	s_waitcnt vmcnt(0)
	v_and_b32_e32 v23, 0xff, v4
	v_cmp_lt_i16_e32 vcc, s8, v23
	s_mov_b64 s[8:9], 0
	s_and_saveexec_b64 s[16:17], vcc
	s_xor_b64 s[16:17], exec, s[16:17]
	s_cbranch_execnz .LBB2_193
; %bb.65:
	s_or_saveexec_b64 s[16:17], s[16:17]
	v_mov_b32_e32 v22, s23
	s_xor_b64 exec, exec, s[16:17]
	s_cbranch_execnz .LBB2_196
.LBB2_66:
	s_or_b64 exec, exec, s[16:17]
	s_and_saveexec_b64 s[16:17], s[8:9]
	s_cbranch_execz .LBB2_68
.LBB2_67:
	v_and_b32_e32 v22, 7, v4
	v_ffbh_u32_e32 v25, v22
	v_min_u32_e32 v25, 32, v25
	v_lshrrev_b16_e32 v23, 3, v4
	v_subrev_u32_e32 v26, 28, v25
	v_and_b32_e32 v23, 15, v23
	v_lshlrev_b32_e32 v26, v26, v4
	v_and_b32_e32 v24, 0xffff, v23
	v_sub_u32_e32 v25, 29, v25
	v_and_b32_e32 v26, 7, v26
	v_cmp_eq_u16_e32 vcc, 0, v23
	v_cndmask_b32_e32 v22, v22, v26, vcc
	v_cndmask_b32_e32 v23, v24, v25, vcc
	v_lshlrev_b32_e32 v24, 8, v4
	v_mov_b32_e32 v25, 0x1c00
	v_lshlrev_b32_e32 v22, 7, v22
	v_and_b32_e32 v24, 0x8000, v24
	v_lshl_add_u32 v23, v23, 10, v25
	v_or3_b32 v22, v24, v23, v22
.LBB2_68:
	s_or_b64 exec, exec, s[16:17]
	v_lshrrev_b32_e32 v25, 8, v4
	s_movk_i32 s8, 0x7f
	v_cmp_gt_i16_sdwa s[16:17], v25, s8 src0_sel:BYTE_0 src1_sel:DWORD
	s_mov_b64 s[8:9], 0
                                        ; implicit-def: $sgpr23
	s_and_saveexec_b64 s[18:19], s[16:17]
	s_xor_b64 s[16:17], exec, s[18:19]
	s_cbranch_execnz .LBB2_197
; %bb.69:
	s_or_saveexec_b64 s[16:17], s[16:17]
	v_mov_b32_e32 v23, s23
	s_xor_b64 exec, exec, s[16:17]
	s_cbranch_execnz .LBB2_200
.LBB2_70:
	s_or_b64 exec, exec, s[16:17]
	s_and_saveexec_b64 s[16:17], s[8:9]
	s_cbranch_execz .LBB2_72
.LBB2_71:
	v_bfe_u32 v23, v4, 8, 3
	v_ffbh_u32_e32 v28, v23
	v_min_u32_e32 v28, 32, v28
	v_lshrrev_b16_e32 v26, 3, v25
	v_subrev_u32_e32 v29, 28, v28
	v_and_b32_e32 v26, 15, v26
	v_lshlrev_b32_e32 v29, v29, v25
	v_and_b32_e32 v27, 0xffff, v26
	v_sub_u32_e32 v28, 29, v28
	v_and_b32_e32 v29, 7, v29
	v_cmp_eq_u16_e32 vcc, 0, v26
	v_cndmask_b32_e32 v23, v23, v29, vcc
	v_cndmask_b32_e32 v26, v27, v28, vcc
	v_mov_b32_e32 v27, 0x1c00
	v_and_b32_e32 v24, 0x8000, v4
	v_lshlrev_b32_e32 v23, 7, v23
	v_lshl_add_u32 v26, v26, 10, v27
	v_or3_b32 v23, v24, v26, v23
.LBB2_72:
	s_or_b64 exec, exec, s[16:17]
	s_movk_i32 s8, 0xff
	v_and_b32_sdwa v26, v4, s8 dst_sel:DWORD dst_unused:UNUSED_PAD src0_sel:WORD_1 src1_sel:DWORD
	s_movk_i32 s8, 0x7f
	v_cmp_lt_i16_e32 vcc, s8, v26
	s_mov_b64 s[8:9], 0
                                        ; implicit-def: $sgpr23
	s_and_saveexec_b64 s[16:17], vcc
	s_xor_b64 s[16:17], exec, s[16:17]
	s_cbranch_execnz .LBB2_201
; %bb.73:
	s_or_saveexec_b64 s[16:17], s[16:17]
	v_mov_b32_e32 v24, s23
	s_xor_b64 exec, exec, s[16:17]
	s_cbranch_execnz .LBB2_204
.LBB2_74:
	s_or_b64 exec, exec, s[16:17]
	s_and_saveexec_b64 s[16:17], s[8:9]
	s_cbranch_execz .LBB2_76
.LBB2_75:
	v_bfe_u32 v24, v4, 16, 3
	v_ffbh_u32_e32 v28, v24
	v_min_u32_e32 v28, 32, v28
	v_lshrrev_b32_e32 v26, 19, v4
	v_subrev_u32_e32 v29, 28, v28
	v_and_b32_e32 v26, 15, v26
	v_lshlrev_b32_sdwa v29, v29, v4 dst_sel:DWORD dst_unused:UNUSED_PAD src0_sel:DWORD src1_sel:WORD_1
	v_bfe_u32 v27, v4, 19, 4
	v_sub_u32_e32 v28, 29, v28
	v_and_b32_e32 v29, 7, v29
	v_cmp_eq_u16_e32 vcc, 0, v26
	v_cndmask_b32_e32 v24, v24, v29, vcc
	v_cndmask_b32_e32 v26, v27, v28, vcc
	v_mov_b32_e32 v27, 0x1c00
	v_lshlrev_b32_e32 v24, 7, v24
	v_and_b32_e32 v25, 0x8000, v25
	v_lshl_add_u32 v26, v26, 10, v27
	v_or3_b32 v24, v25, v26, v24
.LBB2_76:
	s_or_b64 exec, exec, s[16:17]
	s_movk_i32 s8, 0x7f
	v_cmp_gt_i16_sdwa s[16:17], v4, s8 src0_sel:BYTE_3 src1_sel:DWORD
	s_mov_b64 s[8:9], 0
                                        ; implicit-def: $sgpr23
	s_and_saveexec_b64 s[18:19], s[16:17]
	s_xor_b64 s[16:17], exec, s[18:19]
	s_cbranch_execnz .LBB2_205
; %bb.77:
	s_or_saveexec_b64 s[16:17], s[16:17]
	v_mov_b32_e32 v25, s23
	s_xor_b64 exec, exec, s[16:17]
	s_cbranch_execnz .LBB2_208
.LBB2_78:
	s_or_b64 exec, exec, s[16:17]
	s_and_saveexec_b64 s[16:17], s[8:9]
	s_cbranch_execz .LBB2_80
.LBB2_79:
	v_bfe_u32 v25, v4, 24, 3
	v_ffbh_u32_e32 v28, v25
	v_min_u32_e32 v28, 32, v28
	v_lshrrev_b32_e32 v26, 27, v4
	v_subrev_u32_e32 v29, 28, v28
	v_and_b32_e32 v26, 15, v26
	v_lshlrev_b32_sdwa v29, v29, v4 dst_sel:DWORD dst_unused:UNUSED_PAD src0_sel:DWORD src1_sel:BYTE_3
	v_bfe_u32 v27, v4, 27, 4
	v_sub_u32_e32 v28, 29, v28
	v_and_b32_e32 v29, 7, v29
	v_cmp_eq_u16_e32 vcc, 0, v26
	v_cndmask_b32_e32 v25, v25, v29, vcc
	v_cndmask_b32_e32 v26, v27, v28, vcc
	s_mov_b32 s8, 0x8000
	v_mov_b32_e32 v27, 0x1c00
	v_lshlrev_b32_e32 v25, 7, v25
	v_and_b32_sdwa v4, v4, s8 dst_sel:DWORD dst_unused:UNUSED_PAD src0_sel:WORD_1 src1_sel:DWORD
	v_lshl_add_u32 v26, v26, 10, v27
	v_or3_b32 v25, v4, v26, v25
.LBB2_80:
	s_or_b64 exec, exec, s[16:17]
	s_movk_i32 s8, 0x7f
	v_cmp_gt_i16_sdwa s[16:17], v5, s8 src0_sel:BYTE_0 src1_sel:DWORD
	s_mov_b64 s[8:9], 0
                                        ; implicit-def: $sgpr23
	s_and_saveexec_b64 s[18:19], s[16:17]
	s_xor_b64 s[16:17], exec, s[18:19]
	s_cbranch_execnz .LBB2_209
; %bb.81:
	s_or_saveexec_b64 s[16:17], s[16:17]
	v_mov_b32_e32 v26, s23
	s_xor_b64 exec, exec, s[16:17]
	s_cbranch_execnz .LBB2_212
.LBB2_82:
	s_or_b64 exec, exec, s[16:17]
	s_and_saveexec_b64 s[16:17], s[8:9]
	s_cbranch_execz .LBB2_84
.LBB2_83:
	v_and_b32_e32 v4, 7, v5
	v_ffbh_u32_e32 v28, v4
	v_min_u32_e32 v28, 32, v28
	v_lshrrev_b16_e32 v26, 3, v5
	v_subrev_u32_e32 v29, 28, v28
	v_and_b32_e32 v26, 15, v26
	v_lshlrev_b32_e32 v29, v29, v5
	v_and_b32_e32 v27, 0xffff, v26
	v_sub_u32_e32 v28, 29, v28
	v_and_b32_e32 v29, 7, v29
	v_cmp_eq_u16_e32 vcc, 0, v26
	v_cndmask_b32_e32 v4, v4, v29, vcc
	v_cndmask_b32_e32 v26, v27, v28, vcc
	v_lshlrev_b32_e32 v27, 8, v5
	v_mov_b32_e32 v28, 0x1c00
	v_lshlrev_b32_e32 v4, 7, v4
	v_and_b32_e32 v27, 0x8000, v27
	v_lshl_add_u32 v26, v26, 10, v28
	v_or3_b32 v26, v27, v26, v4
.LBB2_84:
	s_or_b64 exec, exec, s[16:17]
	v_lshrrev_b32_e32 v4, 8, v5
	s_movk_i32 s8, 0x7f
	v_cmp_gt_i16_sdwa s[16:17], v4, s8 src0_sel:BYTE_0 src1_sel:DWORD
	s_mov_b64 s[8:9], 0
                                        ; implicit-def: $sgpr23
	s_and_saveexec_b64 s[18:19], s[16:17]
	s_xor_b64 s[16:17], exec, s[18:19]
	s_cbranch_execnz .LBB2_213
; %bb.85:
	s_or_saveexec_b64 s[16:17], s[16:17]
	v_mov_b32_e32 v27, s23
	s_xor_b64 exec, exec, s[16:17]
	s_cbranch_execnz .LBB2_216
.LBB2_86:
	s_or_b64 exec, exec, s[16:17]
	s_and_saveexec_b64 s[16:17], s[8:9]
	s_cbranch_execz .LBB2_88
.LBB2_87:
	v_bfe_u32 v27, v5, 8, 3
	v_ffbh_u32_e32 v32, v27
	v_min_u32_e32 v32, 32, v32
	v_lshrrev_b16_e32 v29, 3, v4
	v_subrev_u32_e32 v33, 28, v32
	v_and_b32_e32 v29, 15, v29
	v_lshlrev_b32_e32 v33, v33, v4
	v_and_b32_e32 v31, 0xffff, v29
	v_sub_u32_e32 v32, 29, v32
	v_and_b32_e32 v33, 7, v33
	v_cmp_eq_u16_e32 vcc, 0, v29
	v_cndmask_b32_e32 v27, v27, v33, vcc
	v_cndmask_b32_e32 v29, v31, v32, vcc
	v_mov_b32_e32 v31, 0x1c00
	v_and_b32_e32 v28, 0x8000, v5
	v_lshlrev_b32_e32 v27, 7, v27
	v_lshl_add_u32 v29, v29, 10, v31
	v_or3_b32 v27, v28, v29, v27
.LBB2_88:
	s_or_b64 exec, exec, s[16:17]
	s_movk_i32 s8, 0xff
	v_and_b32_sdwa v29, v5, s8 dst_sel:DWORD dst_unused:UNUSED_PAD src0_sel:WORD_1 src1_sel:DWORD
	s_movk_i32 s8, 0x7f
	v_cmp_lt_i16_e32 vcc, s8, v29
	s_mov_b64 s[8:9], 0
                                        ; implicit-def: $sgpr23
	s_and_saveexec_b64 s[16:17], vcc
	s_xor_b64 s[16:17], exec, s[16:17]
	s_cbranch_execnz .LBB2_217
; %bb.89:
	s_or_saveexec_b64 s[16:17], s[16:17]
	v_mov_b32_e32 v28, s23
	s_xor_b64 exec, exec, s[16:17]
	s_cbranch_execnz .LBB2_220
.LBB2_90:
	s_or_b64 exec, exec, s[16:17]
	s_and_saveexec_b64 s[16:17], s[8:9]
	s_cbranch_execz .LBB2_92
.LBB2_91:
	v_bfe_u32 v28, v5, 16, 3
	v_ffbh_u32_e32 v32, v28
	v_min_u32_e32 v32, 32, v32
	v_lshrrev_b32_e32 v29, 19, v5
	v_subrev_u32_e32 v33, 28, v32
	v_and_b32_e32 v29, 15, v29
	v_lshlrev_b32_sdwa v33, v33, v5 dst_sel:DWORD dst_unused:UNUSED_PAD src0_sel:DWORD src1_sel:WORD_1
	v_bfe_u32 v31, v5, 19, 4
	v_sub_u32_e32 v32, 29, v32
	v_and_b32_e32 v33, 7, v33
	v_cmp_eq_u16_e32 vcc, 0, v29
	v_cndmask_b32_e32 v28, v28, v33, vcc
	v_cndmask_b32_e32 v29, v31, v32, vcc
	v_mov_b32_e32 v31, 0x1c00
	v_lshlrev_b32_e32 v28, 7, v28
	v_and_b32_e32 v4, 0x8000, v4
	v_lshl_add_u32 v29, v29, 10, v31
	v_or3_b32 v28, v4, v29, v28
.LBB2_92:
	s_or_b64 exec, exec, s[16:17]
	s_movk_i32 s8, 0x7f
	v_cmp_gt_i16_sdwa s[16:17], v5, s8 src0_sel:BYTE_3 src1_sel:DWORD
	s_mov_b64 s[8:9], 0
                                        ; implicit-def: $sgpr23
	s_and_saveexec_b64 s[18:19], s[16:17]
	s_xor_b64 s[16:17], exec, s[18:19]
	s_cbranch_execnz .LBB2_221
; %bb.93:
	s_or_saveexec_b64 s[16:17], s[16:17]
	v_mov_b32_e32 v29, s23
	s_xor_b64 exec, exec, s[16:17]
	s_cbranch_execnz .LBB2_224
.LBB2_94:
	s_or_b64 exec, exec, s[16:17]
	s_and_saveexec_b64 s[16:17], s[8:9]
	s_cbranch_execz .LBB2_96
.LBB2_95:
	v_bfe_u32 v4, v5, 24, 3
	v_ffbh_u32_e32 v32, v4
	v_min_u32_e32 v32, 32, v32
	v_lshrrev_b32_e32 v29, 27, v5
	v_subrev_u32_e32 v33, 28, v32
	v_and_b32_e32 v29, 15, v29
	v_lshlrev_b32_sdwa v33, v33, v5 dst_sel:DWORD dst_unused:UNUSED_PAD src0_sel:DWORD src1_sel:BYTE_3
	v_bfe_u32 v31, v5, 27, 4
	v_sub_u32_e32 v32, 29, v32
	v_and_b32_e32 v33, 7, v33
	v_cmp_eq_u16_e32 vcc, 0, v29
	v_cndmask_b32_e32 v4, v4, v33, vcc
	v_cndmask_b32_e32 v29, v31, v32, vcc
	s_mov_b32 s8, 0x8000
	v_mov_b32_e32 v31, 0x1c00
	v_lshlrev_b32_e32 v4, 7, v4
	v_and_b32_sdwa v5, v5, s8 dst_sel:DWORD dst_unused:UNUSED_PAD src0_sel:WORD_1 src1_sel:DWORD
	v_lshl_add_u32 v29, v29, 10, v31
	v_or3_b32 v29, v5, v29, v4
.LBB2_96:
	s_or_b64 exec, exec, s[16:17]
	v_add_u32_e32 v4, s3, v30
	buffer_load_dwordx2 v[4:5], v4, s[4:7], 0 offen
	s_movk_i32 s3, 0x7f
	s_mov_b64 s[4:5], 0
	s_waitcnt vmcnt(0)
	v_cmp_gt_i16_sdwa s[6:7], v4, s3 src0_sel:BYTE_0 src1_sel:DWORD
                                        ; implicit-def: $sgpr3
	s_and_saveexec_b64 s[8:9], s[6:7]
	s_xor_b64 s[6:7], exec, s[8:9]
	s_cbranch_execnz .LBB2_225
; %bb.97:
	s_or_saveexec_b64 s[6:7], s[6:7]
	v_mov_b32_e32 v30, s3
	s_xor_b64 exec, exec, s[6:7]
	s_cbranch_execnz .LBB2_228
.LBB2_98:
	s_or_b64 exec, exec, s[6:7]
	s_and_saveexec_b64 s[6:7], s[4:5]
	s_cbranch_execz .LBB2_100
.LBB2_99:
	v_and_b32_e32 v30, 7, v4
	v_ffbh_u32_e32 v33, v30
	v_min_u32_e32 v33, 32, v33
	v_lshrrev_b16_e32 v31, 3, v4
	v_subrev_u32_e32 v34, 28, v33
	v_and_b32_e32 v31, 15, v31
	v_lshlrev_b32_e32 v34, v34, v4
	v_and_b32_e32 v32, 0xffff, v31
	v_sub_u32_e32 v33, 29, v33
	v_and_b32_e32 v34, 7, v34
	v_cmp_eq_u16_e32 vcc, 0, v31
	v_cndmask_b32_e32 v30, v30, v34, vcc
	v_cndmask_b32_e32 v31, v32, v33, vcc
	v_lshlrev_b32_e32 v32, 8, v4
	v_mov_b32_e32 v33, 0x1c00
	v_lshlrev_b32_e32 v30, 7, v30
	v_and_b32_e32 v32, 0x8000, v32
	v_lshl_add_u32 v31, v31, 10, v33
	v_or3_b32 v30, v32, v31, v30
.LBB2_100:
	s_or_b64 exec, exec, s[6:7]
	v_lshrrev_b32_e32 v33, 8, v4
	s_movk_i32 s3, 0x7f
	v_cmp_gt_i16_sdwa s[6:7], v33, s3 src0_sel:BYTE_0 src1_sel:DWORD
	s_mov_b64 s[4:5], 0
                                        ; implicit-def: $sgpr3
	s_and_saveexec_b64 s[8:9], s[6:7]
	s_xor_b64 s[6:7], exec, s[8:9]
	s_cbranch_execnz .LBB2_229
; %bb.101:
	s_or_saveexec_b64 s[6:7], s[6:7]
	v_mov_b32_e32 v31, s3
	s_xor_b64 exec, exec, s[6:7]
	s_cbranch_execnz .LBB2_232
.LBB2_102:
	s_or_b64 exec, exec, s[6:7]
	s_and_saveexec_b64 s[6:7], s[4:5]
	s_cbranch_execz .LBB2_104
.LBB2_103:
	v_bfe_u32 v31, v4, 8, 3
	v_ffbh_u32_e32 v36, v31
	v_min_u32_e32 v36, 32, v36
	v_lshrrev_b16_e32 v34, 3, v33
	v_subrev_u32_e32 v37, 28, v36
	v_and_b32_e32 v34, 15, v34
	v_lshlrev_b32_e32 v37, v37, v33
	v_and_b32_e32 v35, 0xffff, v34
	v_sub_u32_e32 v36, 29, v36
	v_and_b32_e32 v37, 7, v37
	v_cmp_eq_u16_e32 vcc, 0, v34
	v_cndmask_b32_e32 v31, v31, v37, vcc
	v_cndmask_b32_e32 v34, v35, v36, vcc
	v_mov_b32_e32 v35, 0x1c00
	v_and_b32_e32 v32, 0x8000, v4
	v_lshlrev_b32_e32 v31, 7, v31
	v_lshl_add_u32 v34, v34, 10, v35
	v_or3_b32 v31, v32, v34, v31
.LBB2_104:
	s_or_b64 exec, exec, s[6:7]
	s_movk_i32 s3, 0xff
	v_and_b32_sdwa v34, v4, s3 dst_sel:DWORD dst_unused:UNUSED_PAD src0_sel:WORD_1 src1_sel:DWORD
	s_movk_i32 s3, 0x7f
	v_cmp_lt_i16_e32 vcc, s3, v34
	s_mov_b64 s[4:5], 0
                                        ; implicit-def: $sgpr3
	s_and_saveexec_b64 s[6:7], vcc
	s_xor_b64 s[6:7], exec, s[6:7]
	s_cbranch_execnz .LBB2_233
; %bb.105:
	s_or_saveexec_b64 s[6:7], s[6:7]
	v_mov_b32_e32 v32, s3
	s_xor_b64 exec, exec, s[6:7]
	s_cbranch_execnz .LBB2_236
.LBB2_106:
	s_or_b64 exec, exec, s[6:7]
	s_and_saveexec_b64 s[6:7], s[4:5]
	s_cbranch_execz .LBB2_108
.LBB2_107:
	v_bfe_u32 v32, v4, 16, 3
	v_ffbh_u32_e32 v36, v32
	v_min_u32_e32 v36, 32, v36
	v_lshrrev_b32_e32 v34, 19, v4
	v_subrev_u32_e32 v37, 28, v36
	v_and_b32_e32 v34, 15, v34
	v_lshlrev_b32_sdwa v37, v37, v4 dst_sel:DWORD dst_unused:UNUSED_PAD src0_sel:DWORD src1_sel:WORD_1
	v_bfe_u32 v35, v4, 19, 4
	v_sub_u32_e32 v36, 29, v36
	v_and_b32_e32 v37, 7, v37
	v_cmp_eq_u16_e32 vcc, 0, v34
	v_cndmask_b32_e32 v32, v32, v37, vcc
	v_cndmask_b32_e32 v34, v35, v36, vcc
	v_mov_b32_e32 v35, 0x1c00
	v_lshlrev_b32_e32 v32, 7, v32
	v_and_b32_e32 v33, 0x8000, v33
	v_lshl_add_u32 v34, v34, 10, v35
	v_or3_b32 v32, v33, v34, v32
.LBB2_108:
	s_or_b64 exec, exec, s[6:7]
	s_movk_i32 s3, 0x7f
	v_cmp_gt_i16_sdwa s[6:7], v4, s3 src0_sel:BYTE_3 src1_sel:DWORD
	s_mov_b64 s[4:5], 0
                                        ; implicit-def: $sgpr3
	s_and_saveexec_b64 s[8:9], s[6:7]
	s_xor_b64 s[6:7], exec, s[8:9]
	s_cbranch_execnz .LBB2_237
; %bb.109:
	s_or_saveexec_b64 s[6:7], s[6:7]
	v_mov_b32_e32 v33, s3
	s_xor_b64 exec, exec, s[6:7]
	s_cbranch_execnz .LBB2_240
.LBB2_110:
	s_or_b64 exec, exec, s[6:7]
	s_and_saveexec_b64 s[6:7], s[4:5]
	s_cbranch_execz .LBB2_112
.LBB2_111:
	v_bfe_u32 v33, v4, 24, 3
	v_ffbh_u32_e32 v36, v33
	v_min_u32_e32 v36, 32, v36
	v_lshrrev_b32_e32 v34, 27, v4
	v_subrev_u32_e32 v37, 28, v36
	v_and_b32_e32 v34, 15, v34
	v_lshlrev_b32_sdwa v37, v37, v4 dst_sel:DWORD dst_unused:UNUSED_PAD src0_sel:DWORD src1_sel:BYTE_3
	v_bfe_u32 v35, v4, 27, 4
	v_sub_u32_e32 v36, 29, v36
	v_and_b32_e32 v37, 7, v37
	v_cmp_eq_u16_e32 vcc, 0, v34
	v_cndmask_b32_e32 v33, v33, v37, vcc
	v_cndmask_b32_e32 v34, v35, v36, vcc
	s_mov_b32 s3, 0x8000
	v_mov_b32_e32 v35, 0x1c00
	v_lshlrev_b32_e32 v33, 7, v33
	v_and_b32_sdwa v4, v4, s3 dst_sel:DWORD dst_unused:UNUSED_PAD src0_sel:WORD_1 src1_sel:DWORD
	v_lshl_add_u32 v34, v34, 10, v35
	v_or3_b32 v33, v4, v34, v33
.LBB2_112:
	s_or_b64 exec, exec, s[6:7]
	s_movk_i32 s3, 0x7f
	v_cmp_gt_i16_sdwa s[6:7], v5, s3 src0_sel:BYTE_0 src1_sel:DWORD
	s_mov_b64 s[4:5], 0
                                        ; implicit-def: $sgpr3
	s_and_saveexec_b64 s[8:9], s[6:7]
	s_xor_b64 s[6:7], exec, s[8:9]
	s_cbranch_execnz .LBB2_241
; %bb.113:
	s_or_saveexec_b64 s[6:7], s[6:7]
	v_mov_b32_e32 v4, s3
	s_xor_b64 exec, exec, s[6:7]
	s_cbranch_execnz .LBB2_244
.LBB2_114:
	s_or_b64 exec, exec, s[6:7]
	s_and_saveexec_b64 s[6:7], s[4:5]
	s_cbranch_execz .LBB2_116
.LBB2_115:
	v_and_b32_e32 v4, 7, v5
	v_ffbh_u32_e32 v36, v4
	v_min_u32_e32 v36, 32, v36
	v_lshrrev_b16_e32 v34, 3, v5
	v_subrev_u32_e32 v37, 28, v36
	v_and_b32_e32 v34, 15, v34
	v_lshlrev_b32_e32 v37, v37, v5
	v_and_b32_e32 v35, 0xffff, v34
	v_sub_u32_e32 v36, 29, v36
	v_and_b32_e32 v37, 7, v37
	v_cmp_eq_u16_e32 vcc, 0, v34
	v_cndmask_b32_e32 v4, v4, v37, vcc
	v_cndmask_b32_e32 v34, v35, v36, vcc
	v_lshlrev_b32_e32 v35, 8, v5
	v_mov_b32_e32 v36, 0x1c00
	v_lshlrev_b32_e32 v4, 7, v4
	v_and_b32_e32 v35, 0x8000, v35
	v_lshl_add_u32 v34, v34, 10, v36
	v_or3_b32 v4, v35, v34, v4
.LBB2_116:
	s_or_b64 exec, exec, s[6:7]
	v_lshrrev_b32_e32 v36, 8, v5
	s_movk_i32 s3, 0x7f
	v_cmp_gt_i16_sdwa s[6:7], v36, s3 src0_sel:BYTE_0 src1_sel:DWORD
	s_mov_b64 s[4:5], 0
                                        ; implicit-def: $sgpr3
	s_and_saveexec_b64 s[8:9], s[6:7]
	s_xor_b64 s[6:7], exec, s[8:9]
	s_cbranch_execnz .LBB2_245
; %bb.117:
	s_or_saveexec_b64 s[6:7], s[6:7]
	v_mov_b32_e32 v34, s3
	s_xor_b64 exec, exec, s[6:7]
	s_cbranch_execnz .LBB2_248
.LBB2_118:
	s_or_b64 exec, exec, s[6:7]
	s_and_saveexec_b64 s[6:7], s[4:5]
	s_cbranch_execz .LBB2_120
.LBB2_119:
	v_bfe_u32 v34, v5, 8, 3
	v_ffbh_u32_e32 v39, v34
	v_min_u32_e32 v39, 32, v39
	v_lshrrev_b16_e32 v37, 3, v36
	v_subrev_u32_e32 v40, 28, v39
	v_and_b32_e32 v37, 15, v37
	v_lshlrev_b32_e32 v40, v40, v36
	v_and_b32_e32 v38, 0xffff, v37
	v_sub_u32_e32 v39, 29, v39
	v_and_b32_e32 v40, 7, v40
	v_cmp_eq_u16_e32 vcc, 0, v37
	v_cndmask_b32_e32 v34, v34, v40, vcc
	v_cndmask_b32_e32 v37, v38, v39, vcc
	v_mov_b32_e32 v38, 0x1c00
	v_and_b32_e32 v35, 0x8000, v5
	v_lshlrev_b32_e32 v34, 7, v34
	v_lshl_add_u32 v37, v37, 10, v38
	v_or3_b32 v34, v35, v37, v34
.LBB2_120:
	s_or_b64 exec, exec, s[6:7]
	s_movk_i32 s3, 0xff
	v_and_b32_sdwa v37, v5, s3 dst_sel:DWORD dst_unused:UNUSED_PAD src0_sel:WORD_1 src1_sel:DWORD
	s_movk_i32 s3, 0x7f
	v_cmp_lt_i16_e32 vcc, s3, v37
	s_mov_b64 s[4:5], 0
                                        ; implicit-def: $sgpr3
	s_and_saveexec_b64 s[6:7], vcc
	s_xor_b64 s[6:7], exec, s[6:7]
	s_cbranch_execnz .LBB2_249
; %bb.121:
	s_or_saveexec_b64 s[6:7], s[6:7]
	v_mov_b32_e32 v35, s3
	s_xor_b64 exec, exec, s[6:7]
	s_cbranch_execnz .LBB2_252
.LBB2_122:
	s_or_b64 exec, exec, s[6:7]
	s_and_saveexec_b64 s[6:7], s[4:5]
	s_cbranch_execz .LBB2_124
.LBB2_123:
	v_bfe_u32 v35, v5, 16, 3
	v_ffbh_u32_e32 v39, v35
	v_min_u32_e32 v39, 32, v39
	v_lshrrev_b32_e32 v37, 19, v5
	v_subrev_u32_e32 v40, 28, v39
	v_and_b32_e32 v37, 15, v37
	v_lshlrev_b32_sdwa v40, v40, v5 dst_sel:DWORD dst_unused:UNUSED_PAD src0_sel:DWORD src1_sel:WORD_1
	v_bfe_u32 v38, v5, 19, 4
	v_sub_u32_e32 v39, 29, v39
	v_and_b32_e32 v40, 7, v40
	v_cmp_eq_u16_e32 vcc, 0, v37
	v_cndmask_b32_e32 v35, v35, v40, vcc
	v_cndmask_b32_e32 v37, v38, v39, vcc
	v_mov_b32_e32 v38, 0x1c00
	v_lshlrev_b32_e32 v35, 7, v35
	v_and_b32_e32 v36, 0x8000, v36
	v_lshl_add_u32 v37, v37, 10, v38
	v_or3_b32 v35, v36, v37, v35
.LBB2_124:
	s_or_b64 exec, exec, s[6:7]
	s_movk_i32 s3, 0x7f
	v_cmp_gt_i16_sdwa s[6:7], v5, s3 src0_sel:BYTE_3 src1_sel:DWORD
	s_mov_b64 s[4:5], 0
                                        ; implicit-def: $sgpr3
	s_and_saveexec_b64 s[8:9], s[6:7]
	s_xor_b64 s[6:7], exec, s[8:9]
	s_cbranch_execnz .LBB2_253
; %bb.125:
	s_or_saveexec_b64 s[6:7], s[6:7]
	v_mov_b32_e32 v36, s3
	s_xor_b64 exec, exec, s[6:7]
	s_cbranch_execnz .LBB2_256
.LBB2_126:
	s_or_b64 exec, exec, s[6:7]
	s_and_saveexec_b64 s[6:7], s[4:5]
	s_cbranch_execz .LBB2_128
.LBB2_127:
	v_bfe_u32 v36, v5, 24, 3
	v_ffbh_u32_e32 v39, v36
	v_min_u32_e32 v39, 32, v39
	v_lshrrev_b32_e32 v37, 27, v5
	v_subrev_u32_e32 v40, 28, v39
	v_and_b32_e32 v37, 15, v37
	v_lshlrev_b32_sdwa v40, v40, v5 dst_sel:DWORD dst_unused:UNUSED_PAD src0_sel:DWORD src1_sel:BYTE_3
	v_bfe_u32 v38, v5, 27, 4
	v_sub_u32_e32 v39, 29, v39
	v_and_b32_e32 v40, 7, v40
	v_cmp_eq_u16_e32 vcc, 0, v37
	v_cndmask_b32_e32 v36, v36, v40, vcc
	v_cndmask_b32_e32 v37, v38, v39, vcc
	s_mov_b32 s3, 0x8000
	v_mov_b32_e32 v38, 0x1c00
	v_lshlrev_b32_e32 v36, 7, v36
	v_and_b32_sdwa v5, v5, s3 dst_sel:DWORD dst_unused:UNUSED_PAD src0_sel:WORD_1 src1_sel:DWORD
	v_lshl_add_u32 v37, v37, 10, v38
	v_or3_b32 v36, v5, v37, v36
.LBB2_128:
	s_or_b64 exec, exec, s[6:7]
	v_lshrrev_b32_e32 v5, 1, v0
	v_and_b32_e32 v37, 0x7e, v5
	s_mul_i32 s22, s22, s13
	s_mul_hi_u32 s3, s21, s13
	v_add_u32_e32 v5, s20, v37
	s_add_i32 s3, s3, s22
	v_mad_u64_u32 v[38:39], s[4:5], v5, s12, v[2:3]
	s_add_u32 s4, 0, 0
	s_addc_u32 s4, s1, 0x7fffffff
	s_mul_i32 s4, s4, s12
	s_add_i32 s2, s2, s4
	s_lshl_b32 s6, s2, 1
	s_mov_b32 s7, 0x20000
	s_mov_b32 s4, s10
	;; [unrolled: 1-line block ×3, first 2 shown]
	v_lshlrev_b32_e32 v2, 1, v38
	v_add_lshl_u32 v5, v38, s12, 1
	buffer_load_dwordx4 v[38:41], v2, s[4:7], 0 offen
	buffer_load_dwordx4 v[42:45], v5, s[4:7], 0 offen
	v_and_b32_e32 v2, 63, v0
	v_and_b32_e32 v5, 48, v0
	s_mov_b32 s2, 0x5040100
	v_lshlrev_b32_e32 v48, 4, v3
	s_movk_i32 s4, 0x1010
	v_bfe_u32 v46, v0, 4, 2
	v_and_b32_e32 v47, 0x80, v0
	v_mul_u32_u24_e32 v49, 0x810, v1
	v_sub_u32_e32 v50, v2, v5
	v_perm_b32 v13, v14, v13, s2
	v_perm_b32 v12, v12, v6, s2
	v_perm_b32 v11, v11, v10, s2
	v_perm_b32 v10, v9, v8, s2
	v_perm_b32 v2, v31, v30, s2
	v_mad_u32_u24 v1, v1, s4, v48
	v_perm_b32 v21, v21, v20, s2
	v_perm_b32 v20, v19, v18, s2
	;; [unrolled: 1-line block ×11, first 2 shown]
	v_lshlrev_b32_e32 v14, 1, v47
	v_mul_u32_u24_e32 v15, 0x1010, v46
	ds_write_b128 v1, v[10:13]
	ds_write_b128 v1, v[18:21] offset:16
	ds_write_b128 v1, v[6:9] offset:32
	;; [unrolled: 1-line block ×3, first 2 shown]
	v_lshlrev_b32_e32 v2, 4, v50
	v_lshl_add_u32 v1, v37, 4, v49
	v_add3_u32 v76, v2, v14, v15
	v_lshlrev_b32_e32 v66, 2, v0
	v_mul_u32_u24_e32 v3, 0x810, v46
	s_movk_i32 s2, 0x180
	v_lshrrev_b32_e32 v77, 3, v0
	s_waitcnt vmcnt(1)
	ds_write_b128 v1, v[38:41] offset:16432
	s_waitcnt vmcnt(0)
	ds_write_b128 v1, v[42:45] offset:16448
	s_waitcnt lgkmcnt(0)
	s_barrier
	ds_read_b128 v[18:21], v76
	v_and_b32_e32 v1, 0x100, v66
	v_add3_u32 v1, v2, v1, v3
	ds_read_b128 v[2:5], v1 offset:16432
	ds_read_b128 v[6:9], v1 offset:16944
	;; [unrolled: 1-line block ×3, first 2 shown]
	s_waitcnt lgkmcnt(2)
	v_mfma_f32_16x16x16f16 v[22:25], v[18:19], v[2:3], 0
	ds_read_b128 v[10:13], v1 offset:17456
	ds_read_b128 v[14:17], v1 offset:17968
	v_and_b32_e32 v1, 15, v0
	s_waitcnt lgkmcnt(3)
	v_mfma_f32_16x16x16f16 v[26:29], v[18:19], v[6:7], 0
	s_waitcnt lgkmcnt(1)
	v_mfma_f32_16x16x16f16 v[30:33], v[18:19], v[10:11], 0
	s_waitcnt lgkmcnt(0)
	v_mfma_f32_16x16x16f16 v[38:41], v[18:19], v[14:15], 0
	v_lshrrev_b32_e32 v18, 2, v0
	v_lshlrev_b32_e32 v19, 3, v0
	v_and_b32_e32 v0, 16, v18
	v_and_b32_e32 v18, 0x200, v66
	v_and_or_b32 v1, v19, s2, v1
	v_and_b32_e32 v19, 28, v66
	v_or3_b32 v1, v1, v18, v0
	v_mfma_f32_16x16x16f16 v[54:57], v[20:21], v[4:5], v[22:25]
	v_or_b32_e32 v0, s20, v19
	v_lshlrev_b32_e32 v78, 1, v19
	v_mfma_f32_16x16x16f16 v[58:61], v[20:21], v[8:9], v[26:29]
	v_mfma_f32_16x16x16f16 v[62:65], v[20:21], v[12:13], v[30:33]
	s_nop 7
	s_nop 1
	v_cvt_f16_f32_e32 v58, v58
	v_mfma_f32_16x16x16f16 v[38:41], v[20:21], v[16:17], v[38:41]
	v_lshl_or_b32 v20, s0, 8, v77
	v_mad_u64_u32 v[74:75], s[4:5], v20, s13, v[0:1]
	v_lshlrev_b32_e32 v0, 1, v1
	v_cvt_f16_f32_e32 v1, v54
	v_cvt_f16_f32_e32 v54, v55
	;; [unrolled: 1-line block ×4, first 2 shown]
	ds_read_b128 v[66:69], v76 offset:1024
	ds_read_b128 v[70:73], v76 offset:1536
	;; [unrolled: 1-line block ×6, first 2 shown]
	s_waitcnt lgkmcnt(0)
	s_barrier
	ds_write_b16 v0, v1
	ds_write_b16 v0, v54 offset:64
	ds_write_b16 v0, v55 offset:128
	;; [unrolled: 1-line block ×3, first 2 shown]
	v_lshl_or_b32 v1, v77, 6, v78
	s_waitcnt lgkmcnt(0)
	s_barrier
	ds_read_b64 v[76:77], v1
	s_add_i32 s0, s1, s3
	s_lshl_b32 s6, s0, 1
	s_mov_b32 s4, s14
	s_mov_b32 s5, s15
	v_lshlrev_b32_e32 v75, 1, v74
	s_waitcnt lgkmcnt(0)
	buffer_store_dwordx2 v[76:77], v75, s[4:7], 0 offen
	s_waitcnt lgkmcnt(0)
	s_barrier
	ds_write_b16 v0, v58
	v_cvt_f16_f32_e32 v58, v59
	v_cvt_f16_f32_e32 v59, v60
	;; [unrolled: 1-line block ×3, first 2 shown]
	ds_write_b16 v0, v58 offset:64
	ds_write_b16 v0, v59 offset:128
	;; [unrolled: 1-line block ×3, first 2 shown]
	s_waitcnt lgkmcnt(0)
	s_barrier
	ds_read_b64 v[58:59], v1
	v_cvt_f16_f32_e32 v60, v62
	v_cvt_f16_f32_e32 v62, v63
	;; [unrolled: 1-line block ×4, first 2 shown]
	s_waitcnt lgkmcnt(0)
	buffer_store_dwordx2 v[58:59], v75, s[4:7], 0 offen offset:64
	s_waitcnt lgkmcnt(0)
	s_barrier
	ds_write_b16 v0, v60
	ds_write_b16 v0, v62 offset:64
	ds_write_b16 v0, v63 offset:128
	;; [unrolled: 1-line block ×3, first 2 shown]
	s_waitcnt lgkmcnt(0)
	s_barrier
	ds_read_b64 v[62:63], v1
	v_mfma_f32_16x16x16f16 v[42:45], v[34:35], v[2:3], 0
	v_cvt_f16_f32_e32 v38, v38
	v_cvt_f16_f32_e32 v64, v41
	s_lshl_b32 s0, s13, 5
	s_waitcnt lgkmcnt(0)
	buffer_store_dwordx2 v[62:63], v75, s[4:7], 0 offen offset:128
	v_cvt_f16_f32_e32 v62, v39
	v_cvt_f16_f32_e32 v63, v40
	s_waitcnt lgkmcnt(0)
	v_mfma_f32_16x16x16f16 v[46:49], v[34:35], v[6:7], 0
	s_barrier
	ds_write_b16 v0, v38
	ds_write_b16 v0, v62 offset:64
	ds_write_b16 v0, v63 offset:128
	;; [unrolled: 1-line block ×3, first 2 shown]
	s_waitcnt lgkmcnt(0)
	s_barrier
	ds_read_b64 v[62:63], v1
	v_add_u32_e32 v75, 0x60, v74
	v_mfma_f32_16x16x16f16 v[50:53], v[34:35], v[10:11], 0
	v_lshlrev_b32_e32 v64, 1, v75
	s_waitcnt lgkmcnt(0)
	buffer_store_dwordx2 v[62:63], v64, s[4:7], 0 offen
	s_waitcnt lgkmcnt(0)
	s_barrier
	v_mfma_f32_16x16x16f16 v[54:57], v[34:35], v[14:15], 0
	v_mfma_f32_16x16x16f16 v[42:45], v[36:37], v[4:5], v[42:45]
	;; [unrolled: 1-line block ×3, first 2 shown]
	s_nop 7
	s_nop 1
	v_cvt_f16_f32_e32 v42, v42
	v_cvt_f16_f32_e32 v43, v43
	v_mfma_f32_16x16x16f16 v[50:53], v[36:37], v[12:13], v[50:53]
	v_cvt_f16_f32_e32 v46, v46
	v_cvt_f16_f32_e32 v47, v47
	;; [unrolled: 1-line block ×3, first 2 shown]
	v_mfma_f32_16x16x16f16 v[34:37], v[36:37], v[16:17], v[54:57]
	s_nop 6
	v_cvt_f16_f32_e32 v50, v50
	v_cvt_f16_f32_e32 v51, v51
	;; [unrolled: 1-line block ×4, first 2 shown]
	v_mfma_f32_16x16x16f16 v[62:65], v[66:67], v[14:15], 0
	v_cvt_f16_f32_e32 v34, v34
	v_cvt_f16_f32_e32 v35, v35
	;; [unrolled: 1-line block ×4, first 2 shown]
	ds_write_b16 v0, v34
	ds_write_b16 v0, v35 offset:64
	ds_write_b16 v0, v36 offset:128
	;; [unrolled: 1-line block ×3, first 2 shown]
	s_waitcnt lgkmcnt(0)
	s_barrier
	v_mfma_f32_16x16x16f16 v[34:37], v[68:69], v[16:17], v[62:65]
	s_nop 6
	ds_read_b64 v[62:63], v1
	v_mfma_f32_16x16x16f16 v[54:57], v[66:67], v[2:3], 0
	s_nop 1
	v_cvt_f16_f32_e32 v34, v34
	v_cvt_f16_f32_e32 v35, v35
	;; [unrolled: 1-line block ×4, first 2 shown]
	v_mfma_f32_16x16x16f16 v[58:61], v[66:67], v[6:7], 0
	v_mfma_f32_16x16x16f16 v[38:41], v[66:67], v[10:11], 0
	v_add_lshl_u32 v66, v75, s0, 1
	s_waitcnt lgkmcnt(0)
	buffer_store_dwordx2 v[62:63], v66, s[4:7], 0 offen
	s_waitcnt lgkmcnt(0)
	s_barrier
	ds_write_b16 v0, v50
	ds_write_b16 v0, v51 offset:64
	ds_write_b16 v0, v52 offset:128
	;; [unrolled: 1-line block ×3, first 2 shown]
	s_waitcnt lgkmcnt(0)
	s_barrier
	v_mfma_f32_16x16x16f16 v[62:65], v[70:71], v[2:3], 0
	v_cvt_f16_f32_e32 v67, v49
	v_mfma_f32_16x16x16f16 v[50:53], v[72:73], v[4:5], v[62:65]
	s_nop 7
	s_nop 0
	ds_read_b64 v[62:63], v1
	v_subrev_u32_e32 v64, 64, v66
	v_mfma_f32_16x16x16f16 v[54:57], v[68:69], v[4:5], v[54:57]
	s_waitcnt lgkmcnt(0)
	buffer_store_dwordx2 v[62:63], v64, s[4:7], 0 offen
	s_waitcnt lgkmcnt(0)
	s_barrier
	ds_write_b16 v0, v46
	ds_write_b16 v0, v47 offset:64
	ds_write_b16 v0, v48 offset:128
	v_mfma_f32_16x16x16f16 v[62:65], v[70:71], v[6:7], 0
	ds_write_b16 v0, v67 offset:192
	s_waitcnt lgkmcnt(0)
	s_barrier
	v_cvt_f16_f32_e32 v67, v45
	v_mfma_f32_16x16x16f16 v[46:49], v[72:73], v[8:9], v[62:65]
	s_nop 6
	ds_read_b64 v[62:63], v1
	v_add_u32_e32 v64, 0xffffff80, v66
	v_cvt_f16_f32_e32 v66, v44
	v_mfma_f32_16x16x16f16 v[58:61], v[68:69], v[8:9], v[58:61]
	v_cvt_f16_f32_e32 v46, v46
	s_waitcnt lgkmcnt(0)
	buffer_store_dwordx2 v[62:63], v64, s[4:7], 0 offen
	s_waitcnt lgkmcnt(0)
	s_barrier
	ds_write_b16 v0, v42
	ds_write_b16 v0, v43 offset:64
	ds_write_b16 v0, v66 offset:128
	ds_write_b16 v0, v67 offset:192
	v_mfma_f32_16x16x16f16 v[62:65], v[70:71], v[10:11], 0
	s_waitcnt lgkmcnt(0)
	s_barrier
	ds_read_b64 v[66:67], v1
	v_cvt_f16_f32_e32 v58, v58
	v_cvt_f16_f32_e32 v59, v59
	;; [unrolled: 1-line block ×4, first 2 shown]
	v_mfma_f32_16x16x16f16 v[38:41], v[68:69], v[12:13], v[38:41]
	v_add_u32_e32 v68, s0, v74
	v_lshlrev_b32_e32 v69, 1, v68
	s_waitcnt lgkmcnt(0)
	buffer_store_dwordx2 v[66:67], v69, s[4:7], 0 offen
	v_cvt_f16_f32_e32 v66, v54
	v_cvt_f16_f32_e32 v67, v55
	;; [unrolled: 1-line block ×3, first 2 shown]
	s_waitcnt lgkmcnt(0)
	v_mfma_f32_16x16x16f16 v[42:45], v[72:73], v[12:13], v[62:65]
	s_barrier
	v_add_u32_e32 v68, s0, v68
	v_cvt_f16_f32_e32 v38, v38
	v_cvt_f16_f32_e32 v39, v39
	;; [unrolled: 1-line block ×4, first 2 shown]
	s_nop 4
	v_cvt_f16_f32_e32 v42, v42
	v_mfma_f32_16x16x16f16 v[62:65], v[70:71], v[14:15], 0
	v_cvt_f16_f32_e32 v70, v57
	ds_write_b16 v0, v66
	ds_write_b16 v0, v67 offset:64
	ds_write_b16 v0, v69 offset:128
	;; [unrolled: 1-line block ×3, first 2 shown]
	s_waitcnt lgkmcnt(0)
	s_barrier
	ds_read_b64 v[66:67], v1
	v_lshlrev_b32_e32 v69, 1, v68
	v_cvt_f16_f32_e32 v43, v43
	v_mfma_f32_16x16x16f16 v[54:57], v[72:73], v[16:17], v[62:65]
	s_waitcnt lgkmcnt(0)
	buffer_store_dwordx2 v[66:67], v69, s[4:7], 0 offen
	s_waitcnt lgkmcnt(0)
	s_barrier
	ds_write_b16 v0, v58
	ds_write_b16 v0, v59 offset:64
	ds_write_b16 v0, v60 offset:128
	;; [unrolled: 1-line block ×3, first 2 shown]
	s_waitcnt lgkmcnt(0)
	s_barrier
	ds_read_b64 v[66:67], v1
	v_mfma_f32_16x16x16f16 v[62:65], v[30:31], v[2:3], 0
	v_cvt_f16_f32_e32 v54, v54
	s_waitcnt lgkmcnt(0)
	buffer_store_dwordx2 v[66:67], v69, s[4:7], 0 offen offset:64
	s_waitcnt lgkmcnt(0)
	s_barrier
	ds_write_b16 v0, v38
	ds_write_b16 v0, v39 offset:64
	ds_write_b16 v0, v40 offset:128
	;; [unrolled: 1-line block ×3, first 2 shown]
	s_waitcnt lgkmcnt(0)
	s_barrier
	ds_read_b64 v[66:67], v1
	v_mfma_f32_16x16x16f16 v[58:61], v[30:31], v[6:7], 0
	s_waitcnt lgkmcnt(0)
	buffer_store_dwordx2 v[66:67], v69, s[4:7], 0 offen offset:128
	s_waitcnt lgkmcnt(0)
	s_barrier
	ds_write_b16 v0, v34
	ds_write_b16 v0, v35 offset:64
	ds_write_b16 v0, v36 offset:128
	;; [unrolled: 1-line block ×3, first 2 shown]
	v_mfma_f32_16x16x16f16 v[38:41], v[30:31], v[10:11], 0
	s_waitcnt lgkmcnt(0)
	s_barrier
	v_add_u32_e32 v66, 0x60, v68
	v_lshlrev_b32_e32 v67, 1, v66
	v_mfma_f32_16x16x16f16 v[34:37], v[30:31], v[14:15], 0
	ds_read_b64 v[30:31], v1
	s_waitcnt lgkmcnt(0)
	buffer_store_dwordx2 v[30:31], v67, s[4:7], 0 offen
	s_waitcnt lgkmcnt(0)
	v_mfma_f32_16x16x16f16 v[62:65], v[32:33], v[4:5], v[62:65]
	s_barrier
	ds_write_b16 v0, v54
	v_cvt_f16_f32_e32 v54, v57
	v_mfma_f32_16x16x16f16 v[58:61], v[32:33], v[8:9], v[58:61]
	v_mfma_f32_16x16x16f16 v[38:41], v[32:33], v[12:13], v[38:41]
	;; [unrolled: 1-line block ×3, first 2 shown]
	s_nop 7
	s_nop 1
	v_cvt_f16_f32_e32 v38, v38
	v_cvt_f16_f32_e32 v39, v39
	;; [unrolled: 1-line block ×6, first 2 shown]
	ds_write_b16 v0, v34 offset:64
	ds_write_b16 v0, v35 offset:128
	;; [unrolled: 1-line block ×3, first 2 shown]
	s_waitcnt lgkmcnt(0)
	s_barrier
	ds_read_b64 v[54:55], v1
	v_add_lshl_u32 v56, v66, s0, 1
	v_subrev_u32_e32 v57, 64, v56
	v_mfma_f32_16x16x16f16 v[34:37], v[26:27], v[2:3], 0
	v_cvt_f16_f32_e32 v30, v30
	s_waitcnt lgkmcnt(0)
	buffer_store_dwordx2 v[54:55], v56, s[4:7], 0 offen
	v_cvt_f16_f32_e32 v54, v44
	v_cvt_f16_f32_e32 v55, v45
	s_waitcnt lgkmcnt(0)
	s_barrier
	ds_write_b16 v0, v42
	ds_write_b16 v0, v43 offset:64
	ds_write_b16 v0, v54 offset:128
	;; [unrolled: 1-line block ×3, first 2 shown]
	s_waitcnt lgkmcnt(0)
	s_barrier
	ds_read_b64 v[54:55], v1
	v_add_u32_e32 v56, 0xffffff80, v56
	v_mfma_f32_16x16x16f16 v[42:45], v[26:27], v[6:7], 0
	v_cvt_f16_f32_e32 v31, v31
	v_cvt_f16_f32_e32 v32, v32
	s_waitcnt lgkmcnt(0)
	buffer_store_dwordx2 v[54:55], v57, s[4:7], 0 offen
	v_cvt_f16_f32_e32 v54, v47
	v_cvt_f16_f32_e32 v55, v48
	;; [unrolled: 1-line block ×3, first 2 shown]
	s_waitcnt lgkmcnt(0)
	s_barrier
	ds_write_b16 v0, v46
	ds_write_b16 v0, v54 offset:64
	ds_write_b16 v0, v55 offset:128
	;; [unrolled: 1-line block ×3, first 2 shown]
	s_waitcnt lgkmcnt(0)
	s_barrier
	ds_read_b64 v[54:55], v1
	v_mfma_f32_16x16x16f16 v[46:49], v[26:27], v[10:11], 0
	v_cvt_f16_f32_e32 v57, v53
	v_cvt_f16_f32_e32 v33, v33
	s_waitcnt lgkmcnt(0)
	buffer_store_dwordx2 v[54:55], v56, s[4:7], 0 offen
	v_cvt_f16_f32_e32 v54, v50
	v_cvt_f16_f32_e32 v55, v51
	v_cvt_f16_f32_e32 v56, v52
	v_mfma_f32_16x16x16f16 v[50:53], v[26:27], v[14:15], 0
	s_waitcnt lgkmcnt(0)
	s_barrier
	ds_write_b16 v0, v54
	ds_write_b16 v0, v55 offset:64
	ds_write_b16 v0, v56 offset:128
	ds_write_b16 v0, v57 offset:192
	s_waitcnt lgkmcnt(0)
	s_barrier
	ds_read_b64 v[54:55], v1
	v_add_u32_e32 v56, s0, v68
	v_mfma_f32_16x16x16f16 v[34:37], v[28:29], v[4:5], v[34:37]
	v_cvt_f16_f32_e32 v57, v64
	v_mfma_f32_16x16x16f16 v[42:45], v[28:29], v[8:9], v[42:45]
	v_mfma_f32_16x16x16f16 v[46:49], v[28:29], v[12:13], v[46:49]
	;; [unrolled: 1-line block ×3, first 2 shown]
	s_nop 6
	v_lshlrev_b32_e32 v50, 1, v56
	s_waitcnt lgkmcnt(0)
	buffer_store_dwordx2 v[54:55], v50, s[4:7], 0 offen
	v_cvt_f16_f32_e32 v54, v62
	v_cvt_f16_f32_e32 v55, v63
	;; [unrolled: 1-line block ×3, first 2 shown]
	s_waitcnt lgkmcnt(0)
	s_barrier
	ds_write_b16 v0, v54
	ds_write_b16 v0, v55 offset:64
	ds_write_b16 v0, v57 offset:128
	;; [unrolled: 1-line block ×3, first 2 shown]
	s_waitcnt lgkmcnt(0)
	s_barrier
	ds_read_b64 v[54:55], v1
	v_add_u32_e32 v62, s0, v56
	v_lshlrev_b32_e32 v63, 1, v62
	v_cvt_f16_f32_e32 v56, v60
	v_cvt_f16_f32_e32 v57, v61
	s_waitcnt lgkmcnt(0)
	buffer_store_dwordx2 v[54:55], v63, s[4:7], 0 offen
	v_cvt_f16_f32_e32 v54, v58
	v_cvt_f16_f32_e32 v55, v59
	s_waitcnt lgkmcnt(0)
	s_barrier
	ds_write_b16 v0, v54
	ds_write_b16 v0, v55 offset:64
	ds_write_b16 v0, v56 offset:128
	ds_write_b16 v0, v57 offset:192
	s_waitcnt lgkmcnt(0)
	s_barrier
	ds_read_b64 v[58:59], v1
	v_mfma_f32_16x16x16f16 v[54:57], v[22:23], v[6:7], 0
	v_cvt_f16_f32_e32 v26, v26
	v_cvt_f16_f32_e32 v27, v27
	;; [unrolled: 1-line block ×3, first 2 shown]
	s_waitcnt lgkmcnt(0)
	buffer_store_dwordx2 v[58:59], v63, s[4:7], 0 offen offset:64
	s_waitcnt lgkmcnt(0)
	s_barrier
	ds_write_b16 v0, v38
	ds_write_b16 v0, v39 offset:64
	ds_write_b16 v0, v40 offset:128
	;; [unrolled: 1-line block ×3, first 2 shown]
	s_waitcnt lgkmcnt(0)
	s_barrier
	ds_read_b64 v[58:59], v1
	v_mfma_f32_16x16x16f16 v[38:41], v[24:25], v[8:9], v[54:57]
	v_cvt_f16_f32_e32 v29, v29
	s_waitcnt lgkmcnt(0)
	buffer_store_dwordx2 v[58:59], v63, s[4:7], 0 offen offset:128
	s_waitcnt lgkmcnt(0)
	s_barrier
	ds_write_b16 v0, v30
	ds_write_b16 v0, v31 offset:64
	ds_write_b16 v0, v32 offset:128
	;; [unrolled: 1-line block ×3, first 2 shown]
	v_mfma_f32_16x16x16f16 v[30:33], v[22:23], v[10:11], 0
	s_waitcnt lgkmcnt(0)
	s_barrier
	ds_read_b64 v[54:55], v1
	v_add_u32_e32 v56, 0x60, v62
	v_lshlrev_b32_e32 v57, 1, v56
	v_add_lshl_u32 v56, v56, s0, 1
	s_waitcnt lgkmcnt(0)
	buffer_store_dwordx2 v[54:55], v57, s[4:7], 0 offen
	s_waitcnt lgkmcnt(0)
	s_barrier
	ds_write_b16 v0, v26
	ds_write_b16 v0, v27 offset:64
	ds_write_b16 v0, v28 offset:128
	;; [unrolled: 1-line block ×3, first 2 shown]
	s_waitcnt lgkmcnt(0)
	s_barrier
	ds_read_b64 v[54:55], v1
	v_mfma_f32_16x16x16f16 v[26:29], v[24:25], v[12:13], v[30:33]
	s_waitcnt lgkmcnt(0)
	buffer_store_dwordx2 v[54:55], v56, s[4:7], 0 offen
	s_waitcnt lgkmcnt(0)
	s_nop 3
	v_cvt_f16_f32_e32 v30, v46
	v_cvt_f16_f32_e32 v31, v47
	;; [unrolled: 1-line block ×4, first 2 shown]
	s_barrier
	ds_write_b16 v0, v30
	ds_write_b16 v0, v31 offset:64
	ds_write_b16 v0, v32 offset:128
	ds_write_b16 v0, v33 offset:192
	s_waitcnt lgkmcnt(0)
	s_barrier
	ds_read_b64 v[46:47], v1
	v_mfma_f32_16x16x16f16 v[50:53], v[22:23], v[2:3], 0
	v_mfma_f32_16x16x16f16 v[30:33], v[22:23], v[14:15], 0
	v_subrev_u32_e32 v22, 64, v56
	s_waitcnt lgkmcnt(0)
	buffer_store_dwordx2 v[46:47], v22, s[4:7], 0 offen
	v_cvt_f16_f32_e32 v22, v42
	v_cvt_f16_f32_e32 v23, v43
	;; [unrolled: 1-line block ×4, first 2 shown]
	s_waitcnt lgkmcnt(0)
	s_barrier
	ds_write_b16 v0, v22
	ds_write_b16 v0, v23 offset:64
	ds_write_b16 v0, v42 offset:128
	;; [unrolled: 1-line block ×3, first 2 shown]
	s_waitcnt lgkmcnt(0)
	s_barrier
	ds_read_b64 v[42:43], v1
	v_mfma_f32_16x16x16f16 v[50:53], v[24:25], v[4:5], v[50:53]
	v_mfma_f32_16x16x16f16 v[22:25], v[24:25], v[16:17], v[30:33]
	s_nop 6
	v_add_u32_e32 v30, 0xffffff80, v56
	s_waitcnt lgkmcnt(0)
	buffer_store_dwordx2 v[42:43], v30, s[4:7], 0 offen
	v_cvt_f16_f32_e32 v30, v34
	v_cvt_f16_f32_e32 v31, v35
	;; [unrolled: 1-line block ×4, first 2 shown]
	s_waitcnt lgkmcnt(0)
	s_barrier
	ds_write_b16 v0, v30
	ds_write_b16 v0, v31 offset:64
	ds_write_b16 v0, v32 offset:128
	;; [unrolled: 1-line block ×3, first 2 shown]
	s_waitcnt lgkmcnt(0)
	s_barrier
	ds_read_b64 v[34:35], v1
	v_add_u32_e32 v42, s0, v62
	v_mfma_f32_16x16x16f16 v[30:33], v[18:19], v[2:3], 0
	v_lshlrev_b32_e32 v2, 1, v42
	v_cvt_f16_f32_e32 v3, v51
	s_waitcnt lgkmcnt(0)
	buffer_store_dwordx2 v[34:35], v2, s[4:7], 0 offen
	v_cvt_f16_f32_e32 v2, v50
	v_cvt_f16_f32_e32 v34, v52
	v_cvt_f16_f32_e32 v35, v53
	s_waitcnt lgkmcnt(0)
	s_barrier
	ds_write_b16 v0, v2
	ds_write_b16 v0, v3 offset:64
	ds_write_b16 v0, v34 offset:128
	ds_write_b16 v0, v35 offset:192
	s_waitcnt lgkmcnt(0)
	s_barrier
	ds_read_b64 v[2:3], v1
	v_add_u32_e32 v42, s0, v42
	v_mfma_f32_16x16x16f16 v[34:37], v[18:19], v[6:7], 0
	v_lshlrev_b32_e32 v6, 1, v42
	v_cvt_f16_f32_e32 v7, v40
	s_waitcnt lgkmcnt(0)
	buffer_store_dwordx2 v[2:3], v6, s[4:7], 0 offen
	v_cvt_f16_f32_e32 v2, v38
	v_cvt_f16_f32_e32 v3, v39
	;; [unrolled: 1-line block ×3, first 2 shown]
	s_waitcnt lgkmcnt(0)
	s_barrier
	ds_write_b16 v0, v2
	ds_write_b16 v0, v3 offset:64
	ds_write_b16 v0, v7 offset:128
	;; [unrolled: 1-line block ×3, first 2 shown]
	s_waitcnt lgkmcnt(0)
	s_barrier
	ds_read_b64 v[2:3], v1
	v_mfma_f32_16x16x16f16 v[38:41], v[18:19], v[10:11], 0
	v_cvt_f16_f32_e32 v7, v28
	v_cvt_f16_f32_e32 v10, v29
	s_waitcnt lgkmcnt(0)
	buffer_store_dwordx2 v[2:3], v6, s[4:7], 0 offen offset:64
	v_cvt_f16_f32_e32 v2, v26
	v_cvt_f16_f32_e32 v3, v27
	s_waitcnt lgkmcnt(0)
	v_mfma_f32_16x16x16f16 v[26:29], v[18:19], v[14:15], 0
	s_barrier
	ds_write_b16 v0, v2
	ds_write_b16 v0, v3 offset:64
	ds_write_b16 v0, v7 offset:128
	;; [unrolled: 1-line block ×3, first 2 shown]
	s_waitcnt lgkmcnt(0)
	s_barrier
	ds_read_b64 v[2:3], v1
	v_cvt_f16_f32_e32 v7, v25
	s_waitcnt lgkmcnt(0)
	buffer_store_dwordx2 v[2:3], v6, s[4:7], 0 offen offset:128
	v_cvt_f16_f32_e32 v2, v22
	v_cvt_f16_f32_e32 v3, v23
	v_mfma_f32_16x16x16f16 v[14:17], v[20:21], v[16:17], v[26:29]
	v_cvt_f16_f32_e32 v6, v24
	s_waitcnt lgkmcnt(0)
	s_barrier
	ds_write_b16 v0, v2
	ds_write_b16 v0, v3 offset:64
	ds_write_b16 v0, v6 offset:128
	;; [unrolled: 1-line block ×3, first 2 shown]
	s_waitcnt lgkmcnt(0)
	s_barrier
	ds_read_b64 v[2:3], v1
	v_add_u32_e32 v6, 0x60, v42
	v_lshlrev_b32_e32 v7, 1, v6
	v_cvt_f16_f32_e32 v10, v17
	s_waitcnt lgkmcnt(0)
	buffer_store_dwordx2 v[2:3], v7, s[4:7], 0 offen
	v_cvt_f16_f32_e32 v2, v14
	v_cvt_f16_f32_e32 v3, v15
	;; [unrolled: 1-line block ×3, first 2 shown]
	s_waitcnt lgkmcnt(0)
	s_barrier
	ds_write_b16 v0, v2
	ds_write_b16 v0, v3 offset:64
	ds_write_b16 v0, v7 offset:128
	;; [unrolled: 1-line block ×3, first 2 shown]
	v_mfma_f32_16x16x16f16 v[10:13], v[20:21], v[12:13], v[38:41]
	s_waitcnt lgkmcnt(0)
	s_barrier
	ds_read_b64 v[2:3], v1
	v_add_lshl_u32 v14, v6, s0, 1
	s_waitcnt lgkmcnt(0)
	buffer_store_dwordx2 v[2:3], v14, s[4:7], 0 offen
	s_nop 4
	v_cvt_f16_f32_e32 v2, v10
	v_cvt_f16_f32_e32 v3, v11
	;; [unrolled: 1-line block ×4, first 2 shown]
	s_waitcnt lgkmcnt(0)
	s_barrier
	ds_write_b16 v0, v2
	ds_write_b16 v0, v3 offset:64
	ds_write_b16 v0, v6 offset:128
	;; [unrolled: 1-line block ×3, first 2 shown]
	v_mfma_f32_16x16x16f16 v[6:9], v[20:21], v[8:9], v[34:37]
	s_waitcnt lgkmcnt(0)
	s_barrier
	ds_read_b64 v[2:3], v1
	v_subrev_u32_e32 v10, 64, v14
	s_waitcnt lgkmcnt(0)
	buffer_store_dwordx2 v[2:3], v10, s[4:7], 0 offen
	s_nop 4
	v_cvt_f16_f32_e32 v2, v6
	v_cvt_f16_f32_e32 v3, v7
	;; [unrolled: 1-line block ×4, first 2 shown]
	s_waitcnt lgkmcnt(0)
	s_barrier
	ds_write_b16 v0, v2
	ds_write_b16 v0, v3 offset:64
	ds_write_b16 v0, v6 offset:128
	;; [unrolled: 1-line block ×3, first 2 shown]
	v_mfma_f32_16x16x16f16 v[2:5], v[20:21], v[4:5], v[30:33]
	s_waitcnt lgkmcnt(0)
	s_barrier
	ds_read_b64 v[6:7], v1
	v_add_u32_e32 v8, 0xffffff80, v14
	s_waitcnt lgkmcnt(0)
	buffer_store_dwordx2 v[6:7], v8, s[4:7], 0 offen
	s_nop 4
	v_cvt_f16_f32_e32 v2, v2
	v_cvt_f16_f32_e32 v3, v3
	v_cvt_f16_f32_e32 v4, v4
	v_cvt_f16_f32_e32 v5, v5
	s_waitcnt lgkmcnt(0)
	s_barrier
	ds_write_b16 v0, v2
	ds_write_b16 v0, v3 offset:64
	ds_write_b16 v0, v4 offset:128
	;; [unrolled: 1-line block ×3, first 2 shown]
	s_waitcnt lgkmcnt(0)
	s_barrier
	ds_read_b64 v[0:1], v1
	v_add_lshl_u32 v2, v42, s0, 1
	s_waitcnt lgkmcnt(0)
	buffer_store_dwordx2 v[0:1], v2, s[4:7], 0 offen
	s_endpgm
.LBB2_129:
	s_movk_i32 s8, 0x80
	v_cmp_eq_u16_e32 vcc, s8, v5
	s_mov_b64 s[8:9], -1
                                        ; implicit-def: $sgpr23
	s_and_saveexec_b64 s[18:19], vcc
; %bb.130:
	s_movk_i32 s23, 0x7c01
	s_xor_b64 s[8:9], exec, -1
; %bb.131:
	s_or_b64 exec, exec, s[18:19]
	s_and_b64 s[8:9], s[8:9], exec
                                        ; implicit-def: $vgpr5
	s_or_saveexec_b64 s[16:17], s[16:17]
	v_mov_b32_e32 v8, s23
	s_xor_b64 exec, exec, s[16:17]
	s_cbranch_execz .LBB2_2
.LBB2_132:
	v_cmp_ne_u16_e32 vcc, 0, v5
	s_andn2_b64 s[8:9], s[8:9], exec
	s_and_b64 s[18:19], vcc, exec
	s_or_b64 s[8:9], s[8:9], s[18:19]
	v_mov_b32_e32 v8, v5
	s_or_b64 exec, exec, s[16:17]
	s_and_saveexec_b64 s[16:17], s[8:9]
	s_cbranch_execnz .LBB2_3
	s_branch .LBB2_4
.LBB2_133:
	s_movk_i32 s8, 0x80
	v_cmp_eq_u16_sdwa s[24:25], v5, s8 src0_sel:BYTE_0 src1_sel:DWORD
	s_mov_b64 s[8:9], -1
                                        ; implicit-def: $sgpr23
	s_and_saveexec_b64 s[18:19], s[24:25]
; %bb.134:
	s_movk_i32 s23, 0x7c01
	s_xor_b64 s[8:9], exec, -1
; %bb.135:
	s_or_b64 exec, exec, s[18:19]
	s_and_b64 s[8:9], s[8:9], exec
	s_or_saveexec_b64 s[16:17], s[16:17]
	v_mov_b32_e32 v9, s23
	s_xor_b64 exec, exec, s[16:17]
	s_cbranch_execz .LBB2_6
.LBB2_136:
	v_mov_b32_e32 v9, 0
	v_cmp_ne_u16_sdwa s[18:19], v5, v9 src0_sel:BYTE_0 src1_sel:DWORD
	s_andn2_b64 s[8:9], s[8:9], exec
	s_and_b64 s[18:19], s[18:19], exec
	s_or_b64 s[8:9], s[8:9], s[18:19]
	s_or_b64 exec, exec, s[16:17]
	s_and_saveexec_b64 s[16:17], s[8:9]
	s_cbranch_execnz .LBB2_7
	s_branch .LBB2_8
.LBB2_137:
	s_movk_i32 s8, 0x80
	v_cmp_eq_u16_e32 vcc, s8, v11
	s_mov_b64 s[8:9], -1
                                        ; implicit-def: $sgpr23
	s_and_saveexec_b64 s[18:19], vcc
; %bb.138:
	s_movk_i32 s23, 0x7c01
	s_xor_b64 s[8:9], exec, -1
; %bb.139:
	s_or_b64 exec, exec, s[18:19]
	s_and_b64 s[8:9], s[8:9], exec
                                        ; implicit-def: $vgpr11
	s_or_saveexec_b64 s[16:17], s[16:17]
	v_mov_b32_e32 v10, s23
	s_xor_b64 exec, exec, s[16:17]
	s_cbranch_execz .LBB2_10
.LBB2_140:
	v_cmp_ne_u16_e32 vcc, 0, v11
	s_andn2_b64 s[8:9], s[8:9], exec
	s_and_b64 s[18:19], vcc, exec
	v_mov_b32_e32 v10, 0
	s_or_b64 s[8:9], s[8:9], s[18:19]
	s_or_b64 exec, exec, s[16:17]
	s_and_saveexec_b64 s[16:17], s[8:9]
	s_cbranch_execnz .LBB2_11
	s_branch .LBB2_12
.LBB2_141:
	s_movk_i32 s8, 0x80
	v_cmp_eq_u16_sdwa s[24:25], v6, s8 src0_sel:BYTE_3 src1_sel:DWORD
	s_mov_b64 s[8:9], -1
                                        ; implicit-def: $sgpr23
	s_and_saveexec_b64 s[18:19], s[24:25]
; %bb.142:
	s_movk_i32 s23, 0x7c01
	s_xor_b64 s[8:9], exec, -1
; %bb.143:
	s_or_b64 exec, exec, s[18:19]
	s_and_b64 s[8:9], s[8:9], exec
	s_or_saveexec_b64 s[16:17], s[16:17]
	v_mov_b32_e32 v11, s23
	s_xor_b64 exec, exec, s[16:17]
	s_cbranch_execz .LBB2_14
.LBB2_144:
	v_mov_b32_e32 v11, 0
	v_cmp_ne_u16_sdwa s[18:19], v6, v11 src0_sel:BYTE_3 src1_sel:DWORD
	s_andn2_b64 s[8:9], s[8:9], exec
	s_and_b64 s[18:19], s[18:19], exec
	s_or_b64 s[8:9], s[8:9], s[18:19]
	s_or_b64 exec, exec, s[16:17]
	s_and_saveexec_b64 s[16:17], s[8:9]
	s_cbranch_execnz .LBB2_15
	s_branch .LBB2_16
.LBB2_145:
	s_movk_i32 s8, 0x80
	v_cmp_eq_u16_sdwa s[24:25], v7, s8 src0_sel:BYTE_0 src1_sel:DWORD
	s_mov_b64 s[8:9], -1
                                        ; implicit-def: $sgpr23
	s_and_saveexec_b64 s[18:19], s[24:25]
; %bb.146:
	s_movk_i32 s23, 0x7c01
	s_xor_b64 s[8:9], exec, -1
; %bb.147:
	s_or_b64 exec, exec, s[18:19]
	s_and_b64 s[8:9], s[8:9], exec
	s_or_saveexec_b64 s[16:17], s[16:17]
	v_mov_b32_e32 v6, s23
	s_xor_b64 exec, exec, s[16:17]
	s_cbranch_execz .LBB2_18
.LBB2_148:
	v_mov_b32_e32 v6, 0
	v_cmp_ne_u16_sdwa s[18:19], v7, v6 src0_sel:BYTE_0 src1_sel:DWORD
	s_andn2_b64 s[8:9], s[8:9], exec
	s_and_b64 s[18:19], s[18:19], exec
	s_or_b64 s[8:9], s[8:9], s[18:19]
	s_or_b64 exec, exec, s[16:17]
	s_and_saveexec_b64 s[16:17], s[8:9]
	s_cbranch_execnz .LBB2_19
	s_branch .LBB2_20
.LBB2_149:
	s_movk_i32 s8, 0x80
	v_cmp_eq_u16_sdwa s[24:25], v5, s8 src0_sel:BYTE_0 src1_sel:DWORD
	s_mov_b64 s[8:9], -1
                                        ; implicit-def: $sgpr23
	s_and_saveexec_b64 s[18:19], s[24:25]
; %bb.150:
	s_movk_i32 s23, 0x7c01
	s_xor_b64 s[8:9], exec, -1
; %bb.151:
	s_or_b64 exec, exec, s[18:19]
	s_and_b64 s[8:9], s[8:9], exec
	s_or_saveexec_b64 s[16:17], s[16:17]
	v_mov_b32_e32 v12, s23
	s_xor_b64 exec, exec, s[16:17]
	s_cbranch_execz .LBB2_22
.LBB2_152:
	v_mov_b32_e32 v12, 0
	v_cmp_ne_u16_sdwa s[18:19], v5, v12 src0_sel:BYTE_0 src1_sel:DWORD
	s_andn2_b64 s[8:9], s[8:9], exec
	s_and_b64 s[18:19], s[18:19], exec
	s_or_b64 s[8:9], s[8:9], s[18:19]
	s_or_b64 exec, exec, s[16:17]
	s_and_saveexec_b64 s[16:17], s[8:9]
	s_cbranch_execnz .LBB2_23
	s_branch .LBB2_24
.LBB2_153:
	s_movk_i32 s8, 0x80
	v_cmp_eq_u16_e32 vcc, s8, v14
	s_mov_b64 s[8:9], -1
                                        ; implicit-def: $sgpr23
	s_and_saveexec_b64 s[18:19], vcc
; %bb.154:
	s_movk_i32 s23, 0x7c01
	s_xor_b64 s[8:9], exec, -1
; %bb.155:
	s_or_b64 exec, exec, s[18:19]
	s_and_b64 s[8:9], s[8:9], exec
                                        ; implicit-def: $vgpr14
	s_or_saveexec_b64 s[16:17], s[16:17]
	v_mov_b32_e32 v13, s23
	s_xor_b64 exec, exec, s[16:17]
	s_cbranch_execz .LBB2_26
.LBB2_156:
	v_cmp_ne_u16_e32 vcc, 0, v14
	s_andn2_b64 s[8:9], s[8:9], exec
	s_and_b64 s[18:19], vcc, exec
	v_mov_b32_e32 v13, 0
	s_or_b64 s[8:9], s[8:9], s[18:19]
	s_or_b64 exec, exec, s[16:17]
	s_and_saveexec_b64 s[16:17], s[8:9]
	s_cbranch_execnz .LBB2_27
	s_branch .LBB2_28
.LBB2_157:
	s_movk_i32 s8, 0x80
	v_cmp_eq_u16_sdwa s[24:25], v7, s8 src0_sel:BYTE_3 src1_sel:DWORD
	s_mov_b64 s[8:9], -1
                                        ; implicit-def: $sgpr23
	s_and_saveexec_b64 s[18:19], s[24:25]
; %bb.158:
	s_movk_i32 s23, 0x7c01
	s_xor_b64 s[8:9], exec, -1
; %bb.159:
	s_or_b64 exec, exec, s[18:19]
	s_and_b64 s[8:9], s[8:9], exec
	s_or_saveexec_b64 s[16:17], s[16:17]
	v_mov_b32_e32 v14, s23
	s_xor_b64 exec, exec, s[16:17]
	s_cbranch_execz .LBB2_30
.LBB2_160:
	v_mov_b32_e32 v14, 0
	v_cmp_ne_u16_sdwa s[18:19], v7, v14 src0_sel:BYTE_3 src1_sel:DWORD
	s_andn2_b64 s[8:9], s[8:9], exec
	s_and_b64 s[18:19], s[18:19], exec
	s_or_b64 s[8:9], s[8:9], s[18:19]
	s_or_b64 exec, exec, s[16:17]
	s_and_saveexec_b64 s[16:17], s[8:9]
	s_cbranch_execnz .LBB2_31
	s_branch .LBB2_32
.LBB2_161:
	s_movk_i32 s8, 0x80
	v_cmp_eq_u16_e32 vcc, s8, v15
	s_mov_b64 s[8:9], -1
                                        ; implicit-def: $sgpr23
	s_and_saveexec_b64 s[18:19], vcc
; %bb.162:
	s_movk_i32 s23, 0x7c01
	s_xor_b64 s[8:9], exec, -1
; %bb.163:
	s_or_b64 exec, exec, s[18:19]
	s_and_b64 s[8:9], s[8:9], exec
                                        ; implicit-def: $vgpr15
	s_or_saveexec_b64 s[16:17], s[16:17]
	v_mov_b32_e32 v7, s23
	s_xor_b64 exec, exec, s[16:17]
	s_cbranch_execz .LBB2_34
.LBB2_164:
	v_cmp_ne_u16_e32 vcc, 0, v15
	s_andn2_b64 s[8:9], s[8:9], exec
	s_and_b64 s[18:19], vcc, exec
	s_or_b64 s[8:9], s[8:9], s[18:19]
	v_mov_b32_e32 v7, v15
	s_or_b64 exec, exec, s[16:17]
	s_and_saveexec_b64 s[16:17], s[8:9]
	s_cbranch_execnz .LBB2_35
	s_branch .LBB2_36
.LBB2_165:
	s_movk_i32 s8, 0x80
	v_cmp_eq_u16_sdwa s[24:25], v17, s8 src0_sel:BYTE_0 src1_sel:DWORD
	s_mov_b64 s[8:9], -1
                                        ; implicit-def: $sgpr23
	s_and_saveexec_b64 s[18:19], s[24:25]
; %bb.166:
	s_movk_i32 s23, 0x7c01
	s_xor_b64 s[8:9], exec, -1
; %bb.167:
	s_or_b64 exec, exec, s[18:19]
	s_and_b64 s[8:9], s[8:9], exec
	s_or_saveexec_b64 s[16:17], s[16:17]
	v_mov_b32_e32 v15, s23
	s_xor_b64 exec, exec, s[16:17]
	s_cbranch_execz .LBB2_38
.LBB2_168:
	v_mov_b32_e32 v15, 0
	v_cmp_ne_u16_sdwa s[18:19], v17, v15 src0_sel:BYTE_0 src1_sel:DWORD
	s_andn2_b64 s[8:9], s[8:9], exec
	s_and_b64 s[18:19], s[18:19], exec
	s_or_b64 s[8:9], s[8:9], s[18:19]
	s_or_b64 exec, exec, s[16:17]
	s_and_saveexec_b64 s[16:17], s[8:9]
	s_cbranch_execnz .LBB2_39
	s_branch .LBB2_40
.LBB2_169:
	s_movk_i32 s8, 0x80
	v_cmp_eq_u16_e32 vcc, s8, v18
	s_mov_b64 s[8:9], -1
                                        ; implicit-def: $sgpr23
	s_and_saveexec_b64 s[18:19], vcc
; %bb.170:
	s_movk_i32 s23, 0x7c01
	s_xor_b64 s[8:9], exec, -1
; %bb.171:
	s_or_b64 exec, exec, s[18:19]
	s_and_b64 s[8:9], s[8:9], exec
                                        ; implicit-def: $vgpr18
	s_or_saveexec_b64 s[16:17], s[16:17]
	v_mov_b32_e32 v16, s23
	s_xor_b64 exec, exec, s[16:17]
	s_cbranch_execz .LBB2_42
.LBB2_172:
	v_cmp_ne_u16_e32 vcc, 0, v18
	s_andn2_b64 s[8:9], s[8:9], exec
	s_and_b64 s[18:19], vcc, exec
	v_mov_b32_e32 v16, 0
	s_or_b64 s[8:9], s[8:9], s[18:19]
	s_or_b64 exec, exec, s[16:17]
	s_and_saveexec_b64 s[16:17], s[8:9]
	s_cbranch_execnz .LBB2_43
	s_branch .LBB2_44
.LBB2_173:
	s_movk_i32 s8, 0x80
	v_cmp_eq_u16_sdwa s[24:25], v4, s8 src0_sel:BYTE_3 src1_sel:DWORD
	s_mov_b64 s[8:9], -1
                                        ; implicit-def: $sgpr23
	s_and_saveexec_b64 s[18:19], s[24:25]
; %bb.174:
	s_movk_i32 s23, 0x7c01
	s_xor_b64 s[8:9], exec, -1
; %bb.175:
	s_or_b64 exec, exec, s[18:19]
	s_and_b64 s[8:9], s[8:9], exec
	s_or_saveexec_b64 s[16:17], s[16:17]
	v_mov_b32_e32 v17, s23
	s_xor_b64 exec, exec, s[16:17]
	s_cbranch_execz .LBB2_46
.LBB2_176:
	v_mov_b32_e32 v17, 0
	v_cmp_ne_u16_sdwa s[18:19], v4, v17 src0_sel:BYTE_3 src1_sel:DWORD
	s_andn2_b64 s[8:9], s[8:9], exec
	s_and_b64 s[18:19], s[18:19], exec
	s_or_b64 s[8:9], s[8:9], s[18:19]
	s_or_b64 exec, exec, s[16:17]
	s_and_saveexec_b64 s[16:17], s[8:9]
	s_cbranch_execnz .LBB2_47
	s_branch .LBB2_48
.LBB2_177:
	s_movk_i32 s8, 0x80
	v_cmp_eq_u16_sdwa s[24:25], v5, s8 src0_sel:BYTE_0 src1_sel:DWORD
	s_mov_b64 s[8:9], -1
                                        ; implicit-def: $sgpr23
	s_and_saveexec_b64 s[18:19], s[24:25]
; %bb.178:
	s_movk_i32 s23, 0x7c01
	s_xor_b64 s[8:9], exec, -1
; %bb.179:
	s_or_b64 exec, exec, s[18:19]
	s_and_b64 s[8:9], s[8:9], exec
	s_or_saveexec_b64 s[16:17], s[16:17]
	v_mov_b32_e32 v18, s23
	s_xor_b64 exec, exec, s[16:17]
	s_cbranch_execz .LBB2_50
.LBB2_180:
	v_mov_b32_e32 v18, 0
	v_cmp_ne_u16_sdwa s[18:19], v5, v18 src0_sel:BYTE_0 src1_sel:DWORD
	s_andn2_b64 s[8:9], s[8:9], exec
	s_and_b64 s[18:19], s[18:19], exec
	s_or_b64 s[8:9], s[8:9], s[18:19]
	s_or_b64 exec, exec, s[16:17]
	s_and_saveexec_b64 s[16:17], s[8:9]
	s_cbranch_execnz .LBB2_51
	s_branch .LBB2_52
.LBB2_181:
	s_movk_i32 s8, 0x80
	v_cmp_eq_u16_sdwa s[24:25], v4, s8 src0_sel:BYTE_0 src1_sel:DWORD
	s_mov_b64 s[8:9], -1
                                        ; implicit-def: $sgpr23
	s_and_saveexec_b64 s[18:19], s[24:25]
; %bb.182:
	s_movk_i32 s23, 0x7c01
	s_xor_b64 s[8:9], exec, -1
; %bb.183:
	s_or_b64 exec, exec, s[18:19]
	s_and_b64 s[8:9], s[8:9], exec
	s_or_saveexec_b64 s[16:17], s[16:17]
	v_mov_b32_e32 v19, s23
	s_xor_b64 exec, exec, s[16:17]
	s_cbranch_execz .LBB2_54
.LBB2_184:
	v_mov_b32_e32 v19, 0
	v_cmp_ne_u16_sdwa s[18:19], v4, v19 src0_sel:BYTE_0 src1_sel:DWORD
	s_andn2_b64 s[8:9], s[8:9], exec
	s_and_b64 s[18:19], s[18:19], exec
	s_or_b64 s[8:9], s[8:9], s[18:19]
	s_or_b64 exec, exec, s[16:17]
	s_and_saveexec_b64 s[16:17], s[8:9]
	s_cbranch_execnz .LBB2_55
	s_branch .LBB2_56
.LBB2_185:
	s_movk_i32 s8, 0x80
	v_cmp_eq_u16_e32 vcc, s8, v21
	s_mov_b64 s[8:9], -1
                                        ; implicit-def: $sgpr23
	s_and_saveexec_b64 s[18:19], vcc
; %bb.186:
	s_movk_i32 s23, 0x7c01
	s_xor_b64 s[8:9], exec, -1
; %bb.187:
	s_or_b64 exec, exec, s[18:19]
	s_and_b64 s[8:9], s[8:9], exec
                                        ; implicit-def: $vgpr21
	s_or_saveexec_b64 s[16:17], s[16:17]
	v_mov_b32_e32 v20, s23
	s_xor_b64 exec, exec, s[16:17]
	s_cbranch_execz .LBB2_58
.LBB2_188:
	v_cmp_ne_u16_e32 vcc, 0, v21
	s_andn2_b64 s[8:9], s[8:9], exec
	s_and_b64 s[18:19], vcc, exec
	v_mov_b32_e32 v20, 0
	s_or_b64 s[8:9], s[8:9], s[18:19]
	s_or_b64 exec, exec, s[16:17]
	s_and_saveexec_b64 s[16:17], s[8:9]
	s_cbranch_execnz .LBB2_59
	s_branch .LBB2_60
.LBB2_189:
	s_movk_i32 s8, 0x80
	v_cmp_eq_u16_sdwa s[24:25], v5, s8 src0_sel:BYTE_3 src1_sel:DWORD
	s_mov_b64 s[8:9], -1
                                        ; implicit-def: $sgpr23
	s_and_saveexec_b64 s[18:19], s[24:25]
; %bb.190:
	s_movk_i32 s23, 0x7c01
	s_xor_b64 s[8:9], exec, -1
; %bb.191:
	s_or_b64 exec, exec, s[18:19]
	s_and_b64 s[8:9], s[8:9], exec
	s_or_saveexec_b64 s[16:17], s[16:17]
	v_mov_b32_e32 v21, s23
	s_xor_b64 exec, exec, s[16:17]
	s_cbranch_execz .LBB2_62
.LBB2_192:
	v_mov_b32_e32 v21, 0
	v_cmp_ne_u16_sdwa s[18:19], v5, v21 src0_sel:BYTE_3 src1_sel:DWORD
	s_andn2_b64 s[8:9], s[8:9], exec
	s_and_b64 s[18:19], s[18:19], exec
	s_or_b64 s[8:9], s[8:9], s[18:19]
	s_or_b64 exec, exec, s[16:17]
	s_and_saveexec_b64 s[16:17], s[8:9]
	s_cbranch_execnz .LBB2_63
	s_branch .LBB2_64
.LBB2_193:
	s_movk_i32 s8, 0x80
	v_cmp_eq_u16_e32 vcc, s8, v23
	s_mov_b64 s[8:9], -1
                                        ; implicit-def: $sgpr23
	s_and_saveexec_b64 s[18:19], vcc
; %bb.194:
	s_movk_i32 s23, 0x7c01
	s_xor_b64 s[8:9], exec, -1
; %bb.195:
	s_or_b64 exec, exec, s[18:19]
	s_and_b64 s[8:9], s[8:9], exec
                                        ; implicit-def: $vgpr23
	s_or_saveexec_b64 s[16:17], s[16:17]
	v_mov_b32_e32 v22, s23
	s_xor_b64 exec, exec, s[16:17]
	s_cbranch_execz .LBB2_66
.LBB2_196:
	v_cmp_ne_u16_e32 vcc, 0, v23
	s_andn2_b64 s[8:9], s[8:9], exec
	s_and_b64 s[18:19], vcc, exec
	s_or_b64 s[8:9], s[8:9], s[18:19]
	v_mov_b32_e32 v22, v23
	s_or_b64 exec, exec, s[16:17]
	s_and_saveexec_b64 s[16:17], s[8:9]
	s_cbranch_execnz .LBB2_67
	s_branch .LBB2_68
.LBB2_197:
	s_movk_i32 s8, 0x80
	v_cmp_eq_u16_sdwa s[24:25], v25, s8 src0_sel:BYTE_0 src1_sel:DWORD
	s_mov_b64 s[8:9], -1
                                        ; implicit-def: $sgpr23
	s_and_saveexec_b64 s[18:19], s[24:25]
; %bb.198:
	s_movk_i32 s23, 0x7c01
	s_xor_b64 s[8:9], exec, -1
; %bb.199:
	s_or_b64 exec, exec, s[18:19]
	s_and_b64 s[8:9], s[8:9], exec
	s_or_saveexec_b64 s[16:17], s[16:17]
	v_mov_b32_e32 v23, s23
	s_xor_b64 exec, exec, s[16:17]
	s_cbranch_execz .LBB2_70
.LBB2_200:
	v_mov_b32_e32 v23, 0
	v_cmp_ne_u16_sdwa s[18:19], v25, v23 src0_sel:BYTE_0 src1_sel:DWORD
	s_andn2_b64 s[8:9], s[8:9], exec
	s_and_b64 s[18:19], s[18:19], exec
	s_or_b64 s[8:9], s[8:9], s[18:19]
	s_or_b64 exec, exec, s[16:17]
	s_and_saveexec_b64 s[16:17], s[8:9]
	s_cbranch_execnz .LBB2_71
	s_branch .LBB2_72
.LBB2_201:
	s_movk_i32 s8, 0x80
	v_cmp_eq_u16_e32 vcc, s8, v26
	s_mov_b64 s[8:9], -1
                                        ; implicit-def: $sgpr23
	s_and_saveexec_b64 s[18:19], vcc
; %bb.202:
	s_movk_i32 s23, 0x7c01
	s_xor_b64 s[8:9], exec, -1
; %bb.203:
	s_or_b64 exec, exec, s[18:19]
	s_and_b64 s[8:9], s[8:9], exec
                                        ; implicit-def: $vgpr26
	s_or_saveexec_b64 s[16:17], s[16:17]
	v_mov_b32_e32 v24, s23
	s_xor_b64 exec, exec, s[16:17]
	s_cbranch_execz .LBB2_74
.LBB2_204:
	v_cmp_ne_u16_e32 vcc, 0, v26
	s_andn2_b64 s[8:9], s[8:9], exec
	s_and_b64 s[18:19], vcc, exec
	v_mov_b32_e32 v24, 0
	s_or_b64 s[8:9], s[8:9], s[18:19]
	s_or_b64 exec, exec, s[16:17]
	s_and_saveexec_b64 s[16:17], s[8:9]
	s_cbranch_execnz .LBB2_75
	s_branch .LBB2_76
.LBB2_205:
	s_movk_i32 s8, 0x80
	v_cmp_eq_u16_sdwa s[24:25], v4, s8 src0_sel:BYTE_3 src1_sel:DWORD
	s_mov_b64 s[8:9], -1
                                        ; implicit-def: $sgpr23
	s_and_saveexec_b64 s[18:19], s[24:25]
; %bb.206:
	s_movk_i32 s23, 0x7c01
	s_xor_b64 s[8:9], exec, -1
; %bb.207:
	s_or_b64 exec, exec, s[18:19]
	s_and_b64 s[8:9], s[8:9], exec
	s_or_saveexec_b64 s[16:17], s[16:17]
	v_mov_b32_e32 v25, s23
	s_xor_b64 exec, exec, s[16:17]
	s_cbranch_execz .LBB2_78
.LBB2_208:
	v_mov_b32_e32 v25, 0
	v_cmp_ne_u16_sdwa s[18:19], v4, v25 src0_sel:BYTE_3 src1_sel:DWORD
	s_andn2_b64 s[8:9], s[8:9], exec
	s_and_b64 s[18:19], s[18:19], exec
	s_or_b64 s[8:9], s[8:9], s[18:19]
	s_or_b64 exec, exec, s[16:17]
	s_and_saveexec_b64 s[16:17], s[8:9]
	s_cbranch_execnz .LBB2_79
	s_branch .LBB2_80
.LBB2_209:
	s_movk_i32 s8, 0x80
	v_cmp_eq_u16_sdwa s[24:25], v5, s8 src0_sel:BYTE_0 src1_sel:DWORD
	s_mov_b64 s[8:9], -1
                                        ; implicit-def: $sgpr23
	s_and_saveexec_b64 s[18:19], s[24:25]
; %bb.210:
	s_movk_i32 s23, 0x7c01
	s_xor_b64 s[8:9], exec, -1
; %bb.211:
	s_or_b64 exec, exec, s[18:19]
	s_and_b64 s[8:9], s[8:9], exec
	s_or_saveexec_b64 s[16:17], s[16:17]
	v_mov_b32_e32 v26, s23
	s_xor_b64 exec, exec, s[16:17]
	s_cbranch_execz .LBB2_82
.LBB2_212:
	v_mov_b32_e32 v26, 0
	v_cmp_ne_u16_sdwa s[18:19], v5, v26 src0_sel:BYTE_0 src1_sel:DWORD
	s_andn2_b64 s[8:9], s[8:9], exec
	s_and_b64 s[18:19], s[18:19], exec
	s_or_b64 s[8:9], s[8:9], s[18:19]
	s_or_b64 exec, exec, s[16:17]
	s_and_saveexec_b64 s[16:17], s[8:9]
	s_cbranch_execnz .LBB2_83
	s_branch .LBB2_84
.LBB2_213:
	s_movk_i32 s8, 0x80
	v_cmp_eq_u16_sdwa s[24:25], v4, s8 src0_sel:BYTE_0 src1_sel:DWORD
	s_mov_b64 s[8:9], -1
                                        ; implicit-def: $sgpr23
	s_and_saveexec_b64 s[18:19], s[24:25]
; %bb.214:
	s_movk_i32 s23, 0x7c01
	s_xor_b64 s[8:9], exec, -1
; %bb.215:
	s_or_b64 exec, exec, s[18:19]
	s_and_b64 s[8:9], s[8:9], exec
	s_or_saveexec_b64 s[16:17], s[16:17]
	v_mov_b32_e32 v27, s23
	s_xor_b64 exec, exec, s[16:17]
	s_cbranch_execz .LBB2_86
.LBB2_216:
	v_mov_b32_e32 v27, 0
	v_cmp_ne_u16_sdwa s[18:19], v4, v27 src0_sel:BYTE_0 src1_sel:DWORD
	s_andn2_b64 s[8:9], s[8:9], exec
	s_and_b64 s[18:19], s[18:19], exec
	s_or_b64 s[8:9], s[8:9], s[18:19]
	s_or_b64 exec, exec, s[16:17]
	s_and_saveexec_b64 s[16:17], s[8:9]
	s_cbranch_execnz .LBB2_87
	s_branch .LBB2_88
.LBB2_217:
	s_movk_i32 s8, 0x80
	v_cmp_eq_u16_e32 vcc, s8, v29
	s_mov_b64 s[8:9], -1
                                        ; implicit-def: $sgpr23
	s_and_saveexec_b64 s[18:19], vcc
; %bb.218:
	s_movk_i32 s23, 0x7c01
	s_xor_b64 s[8:9], exec, -1
; %bb.219:
	s_or_b64 exec, exec, s[18:19]
	s_and_b64 s[8:9], s[8:9], exec
                                        ; implicit-def: $vgpr29
	s_or_saveexec_b64 s[16:17], s[16:17]
	v_mov_b32_e32 v28, s23
	s_xor_b64 exec, exec, s[16:17]
	s_cbranch_execz .LBB2_90
.LBB2_220:
	v_cmp_ne_u16_e32 vcc, 0, v29
	s_andn2_b64 s[8:9], s[8:9], exec
	s_and_b64 s[18:19], vcc, exec
	v_mov_b32_e32 v28, 0
	s_or_b64 s[8:9], s[8:9], s[18:19]
	s_or_b64 exec, exec, s[16:17]
	s_and_saveexec_b64 s[16:17], s[8:9]
	s_cbranch_execnz .LBB2_91
	s_branch .LBB2_92
.LBB2_221:
	s_movk_i32 s8, 0x80
	v_cmp_eq_u16_sdwa s[24:25], v5, s8 src0_sel:BYTE_3 src1_sel:DWORD
	s_mov_b64 s[8:9], -1
                                        ; implicit-def: $sgpr23
	s_and_saveexec_b64 s[18:19], s[24:25]
; %bb.222:
	s_movk_i32 s23, 0x7c01
	s_xor_b64 s[8:9], exec, -1
; %bb.223:
	s_or_b64 exec, exec, s[18:19]
	s_and_b64 s[8:9], s[8:9], exec
	s_or_saveexec_b64 s[16:17], s[16:17]
	v_mov_b32_e32 v29, s23
	s_xor_b64 exec, exec, s[16:17]
	s_cbranch_execz .LBB2_94
.LBB2_224:
	v_mov_b32_e32 v29, 0
	v_cmp_ne_u16_sdwa s[18:19], v5, v29 src0_sel:BYTE_3 src1_sel:DWORD
	s_andn2_b64 s[8:9], s[8:9], exec
	s_and_b64 s[18:19], s[18:19], exec
	s_or_b64 s[8:9], s[8:9], s[18:19]
	s_or_b64 exec, exec, s[16:17]
	s_and_saveexec_b64 s[16:17], s[8:9]
	s_cbranch_execnz .LBB2_95
	s_branch .LBB2_96
.LBB2_225:
	s_movk_i32 s3, 0x80
	v_cmp_eq_u16_sdwa s[16:17], v4, s3 src0_sel:BYTE_0 src1_sel:DWORD
	s_mov_b64 s[4:5], -1
                                        ; implicit-def: $sgpr3
	s_and_saveexec_b64 s[8:9], s[16:17]
; %bb.226:
	s_movk_i32 s3, 0x7c01
	s_xor_b64 s[4:5], exec, -1
; %bb.227:
	s_or_b64 exec, exec, s[8:9]
	s_and_b64 s[4:5], s[4:5], exec
	s_or_saveexec_b64 s[6:7], s[6:7]
	v_mov_b32_e32 v30, s3
	s_xor_b64 exec, exec, s[6:7]
	s_cbranch_execz .LBB2_98
.LBB2_228:
	v_mov_b32_e32 v30, 0
	v_cmp_ne_u16_sdwa s[8:9], v4, v30 src0_sel:BYTE_0 src1_sel:DWORD
	s_andn2_b64 s[4:5], s[4:5], exec
	s_and_b64 s[8:9], s[8:9], exec
	s_or_b64 s[4:5], s[4:5], s[8:9]
	s_or_b64 exec, exec, s[6:7]
	s_and_saveexec_b64 s[6:7], s[4:5]
	s_cbranch_execnz .LBB2_99
	s_branch .LBB2_100
.LBB2_229:
	s_movk_i32 s3, 0x80
	v_cmp_eq_u16_sdwa s[16:17], v33, s3 src0_sel:BYTE_0 src1_sel:DWORD
	s_mov_b64 s[4:5], -1
                                        ; implicit-def: $sgpr3
	s_and_saveexec_b64 s[8:9], s[16:17]
; %bb.230:
	s_movk_i32 s3, 0x7c01
	s_xor_b64 s[4:5], exec, -1
; %bb.231:
	s_or_b64 exec, exec, s[8:9]
	s_and_b64 s[4:5], s[4:5], exec
	s_or_saveexec_b64 s[6:7], s[6:7]
	v_mov_b32_e32 v31, s3
	s_xor_b64 exec, exec, s[6:7]
	s_cbranch_execz .LBB2_102
.LBB2_232:
	v_mov_b32_e32 v31, 0
	v_cmp_ne_u16_sdwa s[8:9], v33, v31 src0_sel:BYTE_0 src1_sel:DWORD
	s_andn2_b64 s[4:5], s[4:5], exec
	s_and_b64 s[8:9], s[8:9], exec
	s_or_b64 s[4:5], s[4:5], s[8:9]
	s_or_b64 exec, exec, s[6:7]
	s_and_saveexec_b64 s[6:7], s[4:5]
	s_cbranch_execnz .LBB2_103
	s_branch .LBB2_104
.LBB2_233:
	s_movk_i32 s3, 0x80
	v_cmp_eq_u16_e32 vcc, s3, v34
	s_mov_b64 s[4:5], -1
                                        ; implicit-def: $sgpr3
	s_and_saveexec_b64 s[8:9], vcc
; %bb.234:
	s_movk_i32 s3, 0x7c01
	s_xor_b64 s[4:5], exec, -1
; %bb.235:
	s_or_b64 exec, exec, s[8:9]
	s_and_b64 s[4:5], s[4:5], exec
                                        ; implicit-def: $vgpr34
	s_or_saveexec_b64 s[6:7], s[6:7]
	v_mov_b32_e32 v32, s3
	s_xor_b64 exec, exec, s[6:7]
	s_cbranch_execz .LBB2_106
.LBB2_236:
	v_cmp_ne_u16_e32 vcc, 0, v34
	s_andn2_b64 s[4:5], s[4:5], exec
	s_and_b64 s[8:9], vcc, exec
	v_mov_b32_e32 v32, 0
	s_or_b64 s[4:5], s[4:5], s[8:9]
	s_or_b64 exec, exec, s[6:7]
	s_and_saveexec_b64 s[6:7], s[4:5]
	s_cbranch_execnz .LBB2_107
	s_branch .LBB2_108
.LBB2_237:
	s_movk_i32 s3, 0x80
	v_cmp_eq_u16_sdwa s[16:17], v4, s3 src0_sel:BYTE_3 src1_sel:DWORD
	s_mov_b64 s[4:5], -1
                                        ; implicit-def: $sgpr3
	s_and_saveexec_b64 s[8:9], s[16:17]
; %bb.238:
	s_movk_i32 s3, 0x7c01
	s_xor_b64 s[4:5], exec, -1
; %bb.239:
	s_or_b64 exec, exec, s[8:9]
	s_and_b64 s[4:5], s[4:5], exec
	s_or_saveexec_b64 s[6:7], s[6:7]
	v_mov_b32_e32 v33, s3
	s_xor_b64 exec, exec, s[6:7]
	s_cbranch_execz .LBB2_110
.LBB2_240:
	v_mov_b32_e32 v33, 0
	v_cmp_ne_u16_sdwa s[8:9], v4, v33 src0_sel:BYTE_3 src1_sel:DWORD
	s_andn2_b64 s[4:5], s[4:5], exec
	s_and_b64 s[8:9], s[8:9], exec
	s_or_b64 s[4:5], s[4:5], s[8:9]
	s_or_b64 exec, exec, s[6:7]
	s_and_saveexec_b64 s[6:7], s[4:5]
	s_cbranch_execnz .LBB2_111
	s_branch .LBB2_112
.LBB2_241:
	s_movk_i32 s3, 0x80
	v_cmp_eq_u16_sdwa s[16:17], v5, s3 src0_sel:BYTE_0 src1_sel:DWORD
	s_mov_b64 s[4:5], -1
                                        ; implicit-def: $sgpr3
	s_and_saveexec_b64 s[8:9], s[16:17]
; %bb.242:
	s_movk_i32 s3, 0x7c01
	s_xor_b64 s[4:5], exec, -1
; %bb.243:
	s_or_b64 exec, exec, s[8:9]
	s_and_b64 s[4:5], s[4:5], exec
	s_or_saveexec_b64 s[6:7], s[6:7]
	v_mov_b32_e32 v4, s3
	s_xor_b64 exec, exec, s[6:7]
	s_cbranch_execz .LBB2_114
.LBB2_244:
	v_mov_b32_e32 v4, 0
	v_cmp_ne_u16_sdwa s[8:9], v5, v4 src0_sel:BYTE_0 src1_sel:DWORD
	s_andn2_b64 s[4:5], s[4:5], exec
	s_and_b64 s[8:9], s[8:9], exec
	s_or_b64 s[4:5], s[4:5], s[8:9]
	s_or_b64 exec, exec, s[6:7]
	s_and_saveexec_b64 s[6:7], s[4:5]
	s_cbranch_execnz .LBB2_115
	s_branch .LBB2_116
.LBB2_245:
	s_movk_i32 s3, 0x80
	v_cmp_eq_u16_sdwa s[16:17], v36, s3 src0_sel:BYTE_0 src1_sel:DWORD
	s_mov_b64 s[4:5], -1
                                        ; implicit-def: $sgpr3
	s_and_saveexec_b64 s[8:9], s[16:17]
; %bb.246:
	s_movk_i32 s3, 0x7c01
	s_xor_b64 s[4:5], exec, -1
; %bb.247:
	s_or_b64 exec, exec, s[8:9]
	s_and_b64 s[4:5], s[4:5], exec
	s_or_saveexec_b64 s[6:7], s[6:7]
	v_mov_b32_e32 v34, s3
	s_xor_b64 exec, exec, s[6:7]
	s_cbranch_execz .LBB2_118
.LBB2_248:
	v_mov_b32_e32 v34, 0
	v_cmp_ne_u16_sdwa s[8:9], v36, v34 src0_sel:BYTE_0 src1_sel:DWORD
	s_andn2_b64 s[4:5], s[4:5], exec
	s_and_b64 s[8:9], s[8:9], exec
	s_or_b64 s[4:5], s[4:5], s[8:9]
	s_or_b64 exec, exec, s[6:7]
	s_and_saveexec_b64 s[6:7], s[4:5]
	s_cbranch_execnz .LBB2_119
	s_branch .LBB2_120
.LBB2_249:
	s_movk_i32 s3, 0x80
	v_cmp_eq_u16_e32 vcc, s3, v37
	s_mov_b64 s[4:5], -1
                                        ; implicit-def: $sgpr3
	s_and_saveexec_b64 s[8:9], vcc
; %bb.250:
	s_movk_i32 s3, 0x7c01
	s_xor_b64 s[4:5], exec, -1
; %bb.251:
	s_or_b64 exec, exec, s[8:9]
	s_and_b64 s[4:5], s[4:5], exec
                                        ; implicit-def: $vgpr37
	s_or_saveexec_b64 s[6:7], s[6:7]
	v_mov_b32_e32 v35, s3
	s_xor_b64 exec, exec, s[6:7]
	s_cbranch_execz .LBB2_122
.LBB2_252:
	v_cmp_ne_u16_e32 vcc, 0, v37
	s_andn2_b64 s[4:5], s[4:5], exec
	s_and_b64 s[8:9], vcc, exec
	v_mov_b32_e32 v35, 0
	s_or_b64 s[4:5], s[4:5], s[8:9]
	s_or_b64 exec, exec, s[6:7]
	s_and_saveexec_b64 s[6:7], s[4:5]
	s_cbranch_execnz .LBB2_123
	s_branch .LBB2_124
.LBB2_253:
	s_movk_i32 s3, 0x80
	v_cmp_eq_u16_sdwa s[16:17], v5, s3 src0_sel:BYTE_3 src1_sel:DWORD
	s_mov_b64 s[4:5], -1
                                        ; implicit-def: $sgpr3
	s_and_saveexec_b64 s[8:9], s[16:17]
; %bb.254:
	s_movk_i32 s3, 0x7c01
	s_xor_b64 s[4:5], exec, -1
; %bb.255:
	s_or_b64 exec, exec, s[8:9]
	s_and_b64 s[4:5], s[4:5], exec
	s_or_saveexec_b64 s[6:7], s[6:7]
	v_mov_b32_e32 v36, s3
	s_xor_b64 exec, exec, s[6:7]
	s_cbranch_execz .LBB2_126
.LBB2_256:
	v_mov_b32_e32 v36, 0
	v_cmp_ne_u16_sdwa s[8:9], v5, v36 src0_sel:BYTE_3 src1_sel:DWORD
	s_andn2_b64 s[4:5], s[4:5], exec
	s_and_b64 s[8:9], s[8:9], exec
	s_or_b64 s[4:5], s[4:5], s[8:9]
	s_or_b64 exec, exec, s[6:7]
	s_and_saveexec_b64 s[6:7], s[4:5]
	s_cbranch_execnz .LBB2_127
	s_branch .LBB2_128
	.section	.rodata,"a",@progbits
	.p2align	6, 0x0
	.amdhsa_kernel _ZN2ck27kernel_gemm_xdl_cshuffle_v1INS_43GridwiseGemm_k0mk1_k0nk1_mn_xdl_cshuffle_v1INS_13tensor_layout4gemm8RowMajorENS3_11ColumnMajorES4_NS_9f8_fnuz_tEDF16_fDF16_DF16_NS_16tensor_operation12element_wise11PassThroughES9_S9_LNS7_6device18GemmSpecializationE0ELNS_25InMemoryDataOperationEnumE0ELi1ELi256ELi256ELi128ELi32ELi8ELi8ELi16ELi16ELi8ELi4ENS_8SequenceIJLi4ELi64ELi1EEEENSD_IJLi1ELi0ELi2EEEESF_Li2ELi8ELi8ELb0ELi1ESE_SF_SF_Li2ELi8ELi8ELb0ELi1ELi1ELi1ENSD_IJLi1ELi32ELi1ELi8EEEELi4ELNS_13LoopSchedulerE0ELNS_15PipelineVersionE0EDF16_DF16_EELb0EEEvNT_8ArgumentE
		.amdhsa_group_segment_fixed_size 24672
		.amdhsa_private_segment_fixed_size 0
		.amdhsa_kernarg_size 96
		.amdhsa_user_sgpr_count 6
		.amdhsa_user_sgpr_private_segment_buffer 1
		.amdhsa_user_sgpr_dispatch_ptr 0
		.amdhsa_user_sgpr_queue_ptr 0
		.amdhsa_user_sgpr_kernarg_segment_ptr 1
		.amdhsa_user_sgpr_dispatch_id 0
		.amdhsa_user_sgpr_flat_scratch_init 0
		.amdhsa_user_sgpr_kernarg_preload_length 0
		.amdhsa_user_sgpr_kernarg_preload_offset 0
		.amdhsa_user_sgpr_private_segment_size 0
		.amdhsa_uses_dynamic_stack 0
		.amdhsa_system_sgpr_private_segment_wavefront_offset 0
		.amdhsa_system_sgpr_workgroup_id_x 1
		.amdhsa_system_sgpr_workgroup_id_y 0
		.amdhsa_system_sgpr_workgroup_id_z 0
		.amdhsa_system_sgpr_workgroup_info 0
		.amdhsa_system_vgpr_workitem_id 0
		.amdhsa_next_free_vgpr 79
		.amdhsa_next_free_sgpr 26
		.amdhsa_accum_offset 80
		.amdhsa_reserve_vcc 1
		.amdhsa_reserve_flat_scratch 0
		.amdhsa_float_round_mode_32 0
		.amdhsa_float_round_mode_16_64 0
		.amdhsa_float_denorm_mode_32 3
		.amdhsa_float_denorm_mode_16_64 3
		.amdhsa_dx10_clamp 1
		.amdhsa_ieee_mode 1
		.amdhsa_fp16_overflow 0
		.amdhsa_tg_split 0
		.amdhsa_exception_fp_ieee_invalid_op 0
		.amdhsa_exception_fp_denorm_src 0
		.amdhsa_exception_fp_ieee_div_zero 0
		.amdhsa_exception_fp_ieee_overflow 0
		.amdhsa_exception_fp_ieee_underflow 0
		.amdhsa_exception_fp_ieee_inexact 0
		.amdhsa_exception_int_div_zero 0
	.end_amdhsa_kernel
	.section	.text._ZN2ck27kernel_gemm_xdl_cshuffle_v1INS_43GridwiseGemm_k0mk1_k0nk1_mn_xdl_cshuffle_v1INS_13tensor_layout4gemm8RowMajorENS3_11ColumnMajorES4_NS_9f8_fnuz_tEDF16_fDF16_DF16_NS_16tensor_operation12element_wise11PassThroughES9_S9_LNS7_6device18GemmSpecializationE0ELNS_25InMemoryDataOperationEnumE0ELi1ELi256ELi256ELi128ELi32ELi8ELi8ELi16ELi16ELi8ELi4ENS_8SequenceIJLi4ELi64ELi1EEEENSD_IJLi1ELi0ELi2EEEESF_Li2ELi8ELi8ELb0ELi1ESE_SF_SF_Li2ELi8ELi8ELb0ELi1ELi1ELi1ENSD_IJLi1ELi32ELi1ELi8EEEELi4ELNS_13LoopSchedulerE0ELNS_15PipelineVersionE0EDF16_DF16_EELb0EEEvNT_8ArgumentE,"axG",@progbits,_ZN2ck27kernel_gemm_xdl_cshuffle_v1INS_43GridwiseGemm_k0mk1_k0nk1_mn_xdl_cshuffle_v1INS_13tensor_layout4gemm8RowMajorENS3_11ColumnMajorES4_NS_9f8_fnuz_tEDF16_fDF16_DF16_NS_16tensor_operation12element_wise11PassThroughES9_S9_LNS7_6device18GemmSpecializationE0ELNS_25InMemoryDataOperationEnumE0ELi1ELi256ELi256ELi128ELi32ELi8ELi8ELi16ELi16ELi8ELi4ENS_8SequenceIJLi4ELi64ELi1EEEENSD_IJLi1ELi0ELi2EEEESF_Li2ELi8ELi8ELb0ELi1ESE_SF_SF_Li2ELi8ELi8ELb0ELi1ELi1ELi1ENSD_IJLi1ELi32ELi1ELi8EEEELi4ELNS_13LoopSchedulerE0ELNS_15PipelineVersionE0EDF16_DF16_EELb0EEEvNT_8ArgumentE,comdat
.Lfunc_end2:
	.size	_ZN2ck27kernel_gemm_xdl_cshuffle_v1INS_43GridwiseGemm_k0mk1_k0nk1_mn_xdl_cshuffle_v1INS_13tensor_layout4gemm8RowMajorENS3_11ColumnMajorES4_NS_9f8_fnuz_tEDF16_fDF16_DF16_NS_16tensor_operation12element_wise11PassThroughES9_S9_LNS7_6device18GemmSpecializationE0ELNS_25InMemoryDataOperationEnumE0ELi1ELi256ELi256ELi128ELi32ELi8ELi8ELi16ELi16ELi8ELi4ENS_8SequenceIJLi4ELi64ELi1EEEENSD_IJLi1ELi0ELi2EEEESF_Li2ELi8ELi8ELb0ELi1ESE_SF_SF_Li2ELi8ELi8ELb0ELi1ELi1ELi1ENSD_IJLi1ELi32ELi1ELi8EEEELi4ELNS_13LoopSchedulerE0ELNS_15PipelineVersionE0EDF16_DF16_EELb0EEEvNT_8ArgumentE, .Lfunc_end2-_ZN2ck27kernel_gemm_xdl_cshuffle_v1INS_43GridwiseGemm_k0mk1_k0nk1_mn_xdl_cshuffle_v1INS_13tensor_layout4gemm8RowMajorENS3_11ColumnMajorES4_NS_9f8_fnuz_tEDF16_fDF16_DF16_NS_16tensor_operation12element_wise11PassThroughES9_S9_LNS7_6device18GemmSpecializationE0ELNS_25InMemoryDataOperationEnumE0ELi1ELi256ELi256ELi128ELi32ELi8ELi8ELi16ELi16ELi8ELi4ENS_8SequenceIJLi4ELi64ELi1EEEENSD_IJLi1ELi0ELi2EEEESF_Li2ELi8ELi8ELb0ELi1ESE_SF_SF_Li2ELi8ELi8ELb0ELi1ELi1ELi1ENSD_IJLi1ELi32ELi1ELi8EEEELi4ELNS_13LoopSchedulerE0ELNS_15PipelineVersionE0EDF16_DF16_EELb0EEEvNT_8ArgumentE
                                        ; -- End function
	.section	.AMDGPU.csdata,"",@progbits
; Kernel info:
; codeLenInByte = 12792
; NumSgprs: 30
; NumVgprs: 79
; NumAgprs: 0
; TotalNumVgprs: 79
; ScratchSize: 0
; MemoryBound: 0
; FloatMode: 240
; IeeeMode: 1
; LDSByteSize: 24672 bytes/workgroup (compile time only)
; SGPRBlocks: 3
; VGPRBlocks: 9
; NumSGPRsForWavesPerEU: 30
; NumVGPRsForWavesPerEU: 79
; AccumOffset: 80
; Occupancy: 2
; WaveLimiterHint : 0
; COMPUTE_PGM_RSRC2:SCRATCH_EN: 0
; COMPUTE_PGM_RSRC2:USER_SGPR: 6
; COMPUTE_PGM_RSRC2:TRAP_HANDLER: 0
; COMPUTE_PGM_RSRC2:TGID_X_EN: 1
; COMPUTE_PGM_RSRC2:TGID_Y_EN: 0
; COMPUTE_PGM_RSRC2:TGID_Z_EN: 0
; COMPUTE_PGM_RSRC2:TIDIG_COMP_CNT: 0
; COMPUTE_PGM_RSRC3_GFX90A:ACCUM_OFFSET: 19
; COMPUTE_PGM_RSRC3_GFX90A:TG_SPLIT: 0
	.section	.text._ZN2ck27kernel_gemm_xdl_cshuffle_v1INS_43GridwiseGemm_k0mk1_k0nk1_mn_xdl_cshuffle_v1INS_13tensor_layout4gemm8RowMajorENS3_11ColumnMajorES4_NS_9f8_fnuz_tEDF16_fDF16_DF16_NS_16tensor_operation12element_wise11PassThroughES9_S9_LNS7_6device18GemmSpecializationE0ELNS_25InMemoryDataOperationEnumE0ELi1ELi256ELi256ELi128ELi32ELi8ELi8ELi16ELi16ELi8ELi2ENS_8SequenceIJLi4ELi64ELi1EEEENSD_IJLi1ELi0ELi2EEEESF_Li2ELi8ELi8ELb0ELi1ESE_SF_SF_Li2ELi8ELi8ELb0ELi1ELi1ELi1ENSD_IJLi1ELi32ELi1ELi8EEEELi4ELNS_13LoopSchedulerE0ELNS_15PipelineVersionE0EDF16_DF16_EELb1EEEvNT_8ArgumentE,"axG",@progbits,_ZN2ck27kernel_gemm_xdl_cshuffle_v1INS_43GridwiseGemm_k0mk1_k0nk1_mn_xdl_cshuffle_v1INS_13tensor_layout4gemm8RowMajorENS3_11ColumnMajorES4_NS_9f8_fnuz_tEDF16_fDF16_DF16_NS_16tensor_operation12element_wise11PassThroughES9_S9_LNS7_6device18GemmSpecializationE0ELNS_25InMemoryDataOperationEnumE0ELi1ELi256ELi256ELi128ELi32ELi8ELi8ELi16ELi16ELi8ELi2ENS_8SequenceIJLi4ELi64ELi1EEEENSD_IJLi1ELi0ELi2EEEESF_Li2ELi8ELi8ELb0ELi1ESE_SF_SF_Li2ELi8ELi8ELb0ELi1ELi1ELi1ENSD_IJLi1ELi32ELi1ELi8EEEELi4ELNS_13LoopSchedulerE0ELNS_15PipelineVersionE0EDF16_DF16_EELb1EEEvNT_8ArgumentE,comdat
	.protected	_ZN2ck27kernel_gemm_xdl_cshuffle_v1INS_43GridwiseGemm_k0mk1_k0nk1_mn_xdl_cshuffle_v1INS_13tensor_layout4gemm8RowMajorENS3_11ColumnMajorES4_NS_9f8_fnuz_tEDF16_fDF16_DF16_NS_16tensor_operation12element_wise11PassThroughES9_S9_LNS7_6device18GemmSpecializationE0ELNS_25InMemoryDataOperationEnumE0ELi1ELi256ELi256ELi128ELi32ELi8ELi8ELi16ELi16ELi8ELi2ENS_8SequenceIJLi4ELi64ELi1EEEENSD_IJLi1ELi0ELi2EEEESF_Li2ELi8ELi8ELb0ELi1ESE_SF_SF_Li2ELi8ELi8ELb0ELi1ELi1ELi1ENSD_IJLi1ELi32ELi1ELi8EEEELi4ELNS_13LoopSchedulerE0ELNS_15PipelineVersionE0EDF16_DF16_EELb1EEEvNT_8ArgumentE ; -- Begin function _ZN2ck27kernel_gemm_xdl_cshuffle_v1INS_43GridwiseGemm_k0mk1_k0nk1_mn_xdl_cshuffle_v1INS_13tensor_layout4gemm8RowMajorENS3_11ColumnMajorES4_NS_9f8_fnuz_tEDF16_fDF16_DF16_NS_16tensor_operation12element_wise11PassThroughES9_S9_LNS7_6device18GemmSpecializationE0ELNS_25InMemoryDataOperationEnumE0ELi1ELi256ELi256ELi128ELi32ELi8ELi8ELi16ELi16ELi8ELi2ENS_8SequenceIJLi4ELi64ELi1EEEENSD_IJLi1ELi0ELi2EEEESF_Li2ELi8ELi8ELb0ELi1ESE_SF_SF_Li2ELi8ELi8ELb0ELi1ELi1ELi1ENSD_IJLi1ELi32ELi1ELi8EEEELi4ELNS_13LoopSchedulerE0ELNS_15PipelineVersionE0EDF16_DF16_EELb1EEEvNT_8ArgumentE
	.globl	_ZN2ck27kernel_gemm_xdl_cshuffle_v1INS_43GridwiseGemm_k0mk1_k0nk1_mn_xdl_cshuffle_v1INS_13tensor_layout4gemm8RowMajorENS3_11ColumnMajorES4_NS_9f8_fnuz_tEDF16_fDF16_DF16_NS_16tensor_operation12element_wise11PassThroughES9_S9_LNS7_6device18GemmSpecializationE0ELNS_25InMemoryDataOperationEnumE0ELi1ELi256ELi256ELi128ELi32ELi8ELi8ELi16ELi16ELi8ELi2ENS_8SequenceIJLi4ELi64ELi1EEEENSD_IJLi1ELi0ELi2EEEESF_Li2ELi8ELi8ELb0ELi1ESE_SF_SF_Li2ELi8ELi8ELb0ELi1ELi1ELi1ENSD_IJLi1ELi32ELi1ELi8EEEELi4ELNS_13LoopSchedulerE0ELNS_15PipelineVersionE0EDF16_DF16_EELb1EEEvNT_8ArgumentE
	.p2align	8
	.type	_ZN2ck27kernel_gemm_xdl_cshuffle_v1INS_43GridwiseGemm_k0mk1_k0nk1_mn_xdl_cshuffle_v1INS_13tensor_layout4gemm8RowMajorENS3_11ColumnMajorES4_NS_9f8_fnuz_tEDF16_fDF16_DF16_NS_16tensor_operation12element_wise11PassThroughES9_S9_LNS7_6device18GemmSpecializationE0ELNS_25InMemoryDataOperationEnumE0ELi1ELi256ELi256ELi128ELi32ELi8ELi8ELi16ELi16ELi8ELi2ENS_8SequenceIJLi4ELi64ELi1EEEENSD_IJLi1ELi0ELi2EEEESF_Li2ELi8ELi8ELb0ELi1ESE_SF_SF_Li2ELi8ELi8ELb0ELi1ELi1ELi1ENSD_IJLi1ELi32ELi1ELi8EEEELi4ELNS_13LoopSchedulerE0ELNS_15PipelineVersionE0EDF16_DF16_EELb1EEEvNT_8ArgumentE,@function
_ZN2ck27kernel_gemm_xdl_cshuffle_v1INS_43GridwiseGemm_k0mk1_k0nk1_mn_xdl_cshuffle_v1INS_13tensor_layout4gemm8RowMajorENS3_11ColumnMajorES4_NS_9f8_fnuz_tEDF16_fDF16_DF16_NS_16tensor_operation12element_wise11PassThroughES9_S9_LNS7_6device18GemmSpecializationE0ELNS_25InMemoryDataOperationEnumE0ELi1ELi256ELi256ELi128ELi32ELi8ELi8ELi16ELi16ELi8ELi2ENS_8SequenceIJLi4ELi64ELi1EEEENSD_IJLi1ELi0ELi2EEEESF_Li2ELi8ELi8ELb0ELi1ESE_SF_SF_Li2ELi8ELi8ELb0ELi1ELi1ELi1ENSD_IJLi1ELi32ELi1ELi8EEEELi4ELNS_13LoopSchedulerE0ELNS_15PipelineVersionE0EDF16_DF16_EELb1EEEvNT_8ArgumentE: ; @_ZN2ck27kernel_gemm_xdl_cshuffle_v1INS_43GridwiseGemm_k0mk1_k0nk1_mn_xdl_cshuffle_v1INS_13tensor_layout4gemm8RowMajorENS3_11ColumnMajorES4_NS_9f8_fnuz_tEDF16_fDF16_DF16_NS_16tensor_operation12element_wise11PassThroughES9_S9_LNS7_6device18GemmSpecializationE0ELNS_25InMemoryDataOperationEnumE0ELi1ELi256ELi256ELi128ELi32ELi8ELi8ELi16ELi16ELi8ELi2ENS_8SequenceIJLi4ELi64ELi1EEEENSD_IJLi1ELi0ELi2EEEESF_Li2ELi8ELi8ELb0ELi1ESE_SF_SF_Li2ELi8ELi8ELb0ELi1ELi1ELi1ENSD_IJLi1ELi32ELi1ELi8EEEELi4ELNS_13LoopSchedulerE0ELNS_15PipelineVersionE0EDF16_DF16_EELb1EEEvNT_8ArgumentE
; %bb.0:
	s_endpgm
	.section	.rodata,"a",@progbits
	.p2align	6, 0x0
	.amdhsa_kernel _ZN2ck27kernel_gemm_xdl_cshuffle_v1INS_43GridwiseGemm_k0mk1_k0nk1_mn_xdl_cshuffle_v1INS_13tensor_layout4gemm8RowMajorENS3_11ColumnMajorES4_NS_9f8_fnuz_tEDF16_fDF16_DF16_NS_16tensor_operation12element_wise11PassThroughES9_S9_LNS7_6device18GemmSpecializationE0ELNS_25InMemoryDataOperationEnumE0ELi1ELi256ELi256ELi128ELi32ELi8ELi8ELi16ELi16ELi8ELi2ENS_8SequenceIJLi4ELi64ELi1EEEENSD_IJLi1ELi0ELi2EEEESF_Li2ELi8ELi8ELb0ELi1ESE_SF_SF_Li2ELi8ELi8ELb0ELi1ELi1ELi1ENSD_IJLi1ELi32ELi1ELi8EEEELi4ELNS_13LoopSchedulerE0ELNS_15PipelineVersionE0EDF16_DF16_EELb1EEEvNT_8ArgumentE
		.amdhsa_group_segment_fixed_size 0
		.amdhsa_private_segment_fixed_size 0
		.amdhsa_kernarg_size 96
		.amdhsa_user_sgpr_count 6
		.amdhsa_user_sgpr_private_segment_buffer 1
		.amdhsa_user_sgpr_dispatch_ptr 0
		.amdhsa_user_sgpr_queue_ptr 0
		.amdhsa_user_sgpr_kernarg_segment_ptr 1
		.amdhsa_user_sgpr_dispatch_id 0
		.amdhsa_user_sgpr_flat_scratch_init 0
		.amdhsa_user_sgpr_kernarg_preload_length 0
		.amdhsa_user_sgpr_kernarg_preload_offset 0
		.amdhsa_user_sgpr_private_segment_size 0
		.amdhsa_uses_dynamic_stack 0
		.amdhsa_system_sgpr_private_segment_wavefront_offset 0
		.amdhsa_system_sgpr_workgroup_id_x 1
		.amdhsa_system_sgpr_workgroup_id_y 0
		.amdhsa_system_sgpr_workgroup_id_z 0
		.amdhsa_system_sgpr_workgroup_info 0
		.amdhsa_system_vgpr_workitem_id 0
		.amdhsa_next_free_vgpr 1
		.amdhsa_next_free_sgpr 0
		.amdhsa_accum_offset 4
		.amdhsa_reserve_vcc 0
		.amdhsa_reserve_flat_scratch 0
		.amdhsa_float_round_mode_32 0
		.amdhsa_float_round_mode_16_64 0
		.amdhsa_float_denorm_mode_32 3
		.amdhsa_float_denorm_mode_16_64 3
		.amdhsa_dx10_clamp 1
		.amdhsa_ieee_mode 1
		.amdhsa_fp16_overflow 0
		.amdhsa_tg_split 0
		.amdhsa_exception_fp_ieee_invalid_op 0
		.amdhsa_exception_fp_denorm_src 0
		.amdhsa_exception_fp_ieee_div_zero 0
		.amdhsa_exception_fp_ieee_overflow 0
		.amdhsa_exception_fp_ieee_underflow 0
		.amdhsa_exception_fp_ieee_inexact 0
		.amdhsa_exception_int_div_zero 0
	.end_amdhsa_kernel
	.section	.text._ZN2ck27kernel_gemm_xdl_cshuffle_v1INS_43GridwiseGemm_k0mk1_k0nk1_mn_xdl_cshuffle_v1INS_13tensor_layout4gemm8RowMajorENS3_11ColumnMajorES4_NS_9f8_fnuz_tEDF16_fDF16_DF16_NS_16tensor_operation12element_wise11PassThroughES9_S9_LNS7_6device18GemmSpecializationE0ELNS_25InMemoryDataOperationEnumE0ELi1ELi256ELi256ELi128ELi32ELi8ELi8ELi16ELi16ELi8ELi2ENS_8SequenceIJLi4ELi64ELi1EEEENSD_IJLi1ELi0ELi2EEEESF_Li2ELi8ELi8ELb0ELi1ESE_SF_SF_Li2ELi8ELi8ELb0ELi1ELi1ELi1ENSD_IJLi1ELi32ELi1ELi8EEEELi4ELNS_13LoopSchedulerE0ELNS_15PipelineVersionE0EDF16_DF16_EELb1EEEvNT_8ArgumentE,"axG",@progbits,_ZN2ck27kernel_gemm_xdl_cshuffle_v1INS_43GridwiseGemm_k0mk1_k0nk1_mn_xdl_cshuffle_v1INS_13tensor_layout4gemm8RowMajorENS3_11ColumnMajorES4_NS_9f8_fnuz_tEDF16_fDF16_DF16_NS_16tensor_operation12element_wise11PassThroughES9_S9_LNS7_6device18GemmSpecializationE0ELNS_25InMemoryDataOperationEnumE0ELi1ELi256ELi256ELi128ELi32ELi8ELi8ELi16ELi16ELi8ELi2ENS_8SequenceIJLi4ELi64ELi1EEEENSD_IJLi1ELi0ELi2EEEESF_Li2ELi8ELi8ELb0ELi1ESE_SF_SF_Li2ELi8ELi8ELb0ELi1ELi1ELi1ENSD_IJLi1ELi32ELi1ELi8EEEELi4ELNS_13LoopSchedulerE0ELNS_15PipelineVersionE0EDF16_DF16_EELb1EEEvNT_8ArgumentE,comdat
.Lfunc_end3:
	.size	_ZN2ck27kernel_gemm_xdl_cshuffle_v1INS_43GridwiseGemm_k0mk1_k0nk1_mn_xdl_cshuffle_v1INS_13tensor_layout4gemm8RowMajorENS3_11ColumnMajorES4_NS_9f8_fnuz_tEDF16_fDF16_DF16_NS_16tensor_operation12element_wise11PassThroughES9_S9_LNS7_6device18GemmSpecializationE0ELNS_25InMemoryDataOperationEnumE0ELi1ELi256ELi256ELi128ELi32ELi8ELi8ELi16ELi16ELi8ELi2ENS_8SequenceIJLi4ELi64ELi1EEEENSD_IJLi1ELi0ELi2EEEESF_Li2ELi8ELi8ELb0ELi1ESE_SF_SF_Li2ELi8ELi8ELb0ELi1ELi1ELi1ENSD_IJLi1ELi32ELi1ELi8EEEELi4ELNS_13LoopSchedulerE0ELNS_15PipelineVersionE0EDF16_DF16_EELb1EEEvNT_8ArgumentE, .Lfunc_end3-_ZN2ck27kernel_gemm_xdl_cshuffle_v1INS_43GridwiseGemm_k0mk1_k0nk1_mn_xdl_cshuffle_v1INS_13tensor_layout4gemm8RowMajorENS3_11ColumnMajorES4_NS_9f8_fnuz_tEDF16_fDF16_DF16_NS_16tensor_operation12element_wise11PassThroughES9_S9_LNS7_6device18GemmSpecializationE0ELNS_25InMemoryDataOperationEnumE0ELi1ELi256ELi256ELi128ELi32ELi8ELi8ELi16ELi16ELi8ELi2ENS_8SequenceIJLi4ELi64ELi1EEEENSD_IJLi1ELi0ELi2EEEESF_Li2ELi8ELi8ELb0ELi1ESE_SF_SF_Li2ELi8ELi8ELb0ELi1ELi1ELi1ENSD_IJLi1ELi32ELi1ELi8EEEELi4ELNS_13LoopSchedulerE0ELNS_15PipelineVersionE0EDF16_DF16_EELb1EEEvNT_8ArgumentE
                                        ; -- End function
	.section	.AMDGPU.csdata,"",@progbits
; Kernel info:
; codeLenInByte = 4
; NumSgprs: 4
; NumVgprs: 0
; NumAgprs: 0
; TotalNumVgprs: 0
; ScratchSize: 0
; MemoryBound: 0
; FloatMode: 240
; IeeeMode: 1
; LDSByteSize: 0 bytes/workgroup (compile time only)
; SGPRBlocks: 0
; VGPRBlocks: 0
; NumSGPRsForWavesPerEU: 4
; NumVGPRsForWavesPerEU: 1
; AccumOffset: 4
; Occupancy: 8
; WaveLimiterHint : 0
; COMPUTE_PGM_RSRC2:SCRATCH_EN: 0
; COMPUTE_PGM_RSRC2:USER_SGPR: 6
; COMPUTE_PGM_RSRC2:TRAP_HANDLER: 0
; COMPUTE_PGM_RSRC2:TGID_X_EN: 1
; COMPUTE_PGM_RSRC2:TGID_Y_EN: 0
; COMPUTE_PGM_RSRC2:TGID_Z_EN: 0
; COMPUTE_PGM_RSRC2:TIDIG_COMP_CNT: 0
; COMPUTE_PGM_RSRC3_GFX90A:ACCUM_OFFSET: 0
; COMPUTE_PGM_RSRC3_GFX90A:TG_SPLIT: 0
	.section	.text._ZN2ck27kernel_gemm_xdl_cshuffle_v1INS_43GridwiseGemm_k0mk1_k0nk1_mn_xdl_cshuffle_v1INS_13tensor_layout4gemm8RowMajorENS3_11ColumnMajorES4_NS_9f8_fnuz_tEDF16_fDF16_DF16_NS_16tensor_operation12element_wise11PassThroughES9_S9_LNS7_6device18GemmSpecializationE0ELNS_25InMemoryDataOperationEnumE0ELi1ELi256ELi256ELi128ELi32ELi8ELi8ELi16ELi16ELi8ELi2ENS_8SequenceIJLi4ELi64ELi1EEEENSD_IJLi1ELi0ELi2EEEESF_Li2ELi8ELi8ELb0ELi1ESE_SF_SF_Li2ELi8ELi8ELb0ELi1ELi1ELi1ENSD_IJLi1ELi32ELi1ELi8EEEELi4ELNS_13LoopSchedulerE0ELNS_15PipelineVersionE0EDF16_DF16_EELb0EEEvNT_8ArgumentE,"axG",@progbits,_ZN2ck27kernel_gemm_xdl_cshuffle_v1INS_43GridwiseGemm_k0mk1_k0nk1_mn_xdl_cshuffle_v1INS_13tensor_layout4gemm8RowMajorENS3_11ColumnMajorES4_NS_9f8_fnuz_tEDF16_fDF16_DF16_NS_16tensor_operation12element_wise11PassThroughES9_S9_LNS7_6device18GemmSpecializationE0ELNS_25InMemoryDataOperationEnumE0ELi1ELi256ELi256ELi128ELi32ELi8ELi8ELi16ELi16ELi8ELi2ENS_8SequenceIJLi4ELi64ELi1EEEENSD_IJLi1ELi0ELi2EEEESF_Li2ELi8ELi8ELb0ELi1ESE_SF_SF_Li2ELi8ELi8ELb0ELi1ELi1ELi1ENSD_IJLi1ELi32ELi1ELi8EEEELi4ELNS_13LoopSchedulerE0ELNS_15PipelineVersionE0EDF16_DF16_EELb0EEEvNT_8ArgumentE,comdat
	.protected	_ZN2ck27kernel_gemm_xdl_cshuffle_v1INS_43GridwiseGemm_k0mk1_k0nk1_mn_xdl_cshuffle_v1INS_13tensor_layout4gemm8RowMajorENS3_11ColumnMajorES4_NS_9f8_fnuz_tEDF16_fDF16_DF16_NS_16tensor_operation12element_wise11PassThroughES9_S9_LNS7_6device18GemmSpecializationE0ELNS_25InMemoryDataOperationEnumE0ELi1ELi256ELi256ELi128ELi32ELi8ELi8ELi16ELi16ELi8ELi2ENS_8SequenceIJLi4ELi64ELi1EEEENSD_IJLi1ELi0ELi2EEEESF_Li2ELi8ELi8ELb0ELi1ESE_SF_SF_Li2ELi8ELi8ELb0ELi1ELi1ELi1ENSD_IJLi1ELi32ELi1ELi8EEEELi4ELNS_13LoopSchedulerE0ELNS_15PipelineVersionE0EDF16_DF16_EELb0EEEvNT_8ArgumentE ; -- Begin function _ZN2ck27kernel_gemm_xdl_cshuffle_v1INS_43GridwiseGemm_k0mk1_k0nk1_mn_xdl_cshuffle_v1INS_13tensor_layout4gemm8RowMajorENS3_11ColumnMajorES4_NS_9f8_fnuz_tEDF16_fDF16_DF16_NS_16tensor_operation12element_wise11PassThroughES9_S9_LNS7_6device18GemmSpecializationE0ELNS_25InMemoryDataOperationEnumE0ELi1ELi256ELi256ELi128ELi32ELi8ELi8ELi16ELi16ELi8ELi2ENS_8SequenceIJLi4ELi64ELi1EEEENSD_IJLi1ELi0ELi2EEEESF_Li2ELi8ELi8ELb0ELi1ESE_SF_SF_Li2ELi8ELi8ELb0ELi1ELi1ELi1ENSD_IJLi1ELi32ELi1ELi8EEEELi4ELNS_13LoopSchedulerE0ELNS_15PipelineVersionE0EDF16_DF16_EELb0EEEvNT_8ArgumentE
	.globl	_ZN2ck27kernel_gemm_xdl_cshuffle_v1INS_43GridwiseGemm_k0mk1_k0nk1_mn_xdl_cshuffle_v1INS_13tensor_layout4gemm8RowMajorENS3_11ColumnMajorES4_NS_9f8_fnuz_tEDF16_fDF16_DF16_NS_16tensor_operation12element_wise11PassThroughES9_S9_LNS7_6device18GemmSpecializationE0ELNS_25InMemoryDataOperationEnumE0ELi1ELi256ELi256ELi128ELi32ELi8ELi8ELi16ELi16ELi8ELi2ENS_8SequenceIJLi4ELi64ELi1EEEENSD_IJLi1ELi0ELi2EEEESF_Li2ELi8ELi8ELb0ELi1ESE_SF_SF_Li2ELi8ELi8ELb0ELi1ELi1ELi1ENSD_IJLi1ELi32ELi1ELi8EEEELi4ELNS_13LoopSchedulerE0ELNS_15PipelineVersionE0EDF16_DF16_EELb0EEEvNT_8ArgumentE
	.p2align	8
	.type	_ZN2ck27kernel_gemm_xdl_cshuffle_v1INS_43GridwiseGemm_k0mk1_k0nk1_mn_xdl_cshuffle_v1INS_13tensor_layout4gemm8RowMajorENS3_11ColumnMajorES4_NS_9f8_fnuz_tEDF16_fDF16_DF16_NS_16tensor_operation12element_wise11PassThroughES9_S9_LNS7_6device18GemmSpecializationE0ELNS_25InMemoryDataOperationEnumE0ELi1ELi256ELi256ELi128ELi32ELi8ELi8ELi16ELi16ELi8ELi2ENS_8SequenceIJLi4ELi64ELi1EEEENSD_IJLi1ELi0ELi2EEEESF_Li2ELi8ELi8ELb0ELi1ESE_SF_SF_Li2ELi8ELi8ELb0ELi1ELi1ELi1ENSD_IJLi1ELi32ELi1ELi8EEEELi4ELNS_13LoopSchedulerE0ELNS_15PipelineVersionE0EDF16_DF16_EELb0EEEvNT_8ArgumentE,@function
_ZN2ck27kernel_gemm_xdl_cshuffle_v1INS_43GridwiseGemm_k0mk1_k0nk1_mn_xdl_cshuffle_v1INS_13tensor_layout4gemm8RowMajorENS3_11ColumnMajorES4_NS_9f8_fnuz_tEDF16_fDF16_DF16_NS_16tensor_operation12element_wise11PassThroughES9_S9_LNS7_6device18GemmSpecializationE0ELNS_25InMemoryDataOperationEnumE0ELi1ELi256ELi256ELi128ELi32ELi8ELi8ELi16ELi16ELi8ELi2ENS_8SequenceIJLi4ELi64ELi1EEEENSD_IJLi1ELi0ELi2EEEESF_Li2ELi8ELi8ELb0ELi1ESE_SF_SF_Li2ELi8ELi8ELb0ELi1ELi1ELi1ENSD_IJLi1ELi32ELi1ELi8EEEELi4ELNS_13LoopSchedulerE0ELNS_15PipelineVersionE0EDF16_DF16_EELb0EEEvNT_8ArgumentE: ; @_ZN2ck27kernel_gemm_xdl_cshuffle_v1INS_43GridwiseGemm_k0mk1_k0nk1_mn_xdl_cshuffle_v1INS_13tensor_layout4gemm8RowMajorENS3_11ColumnMajorES4_NS_9f8_fnuz_tEDF16_fDF16_DF16_NS_16tensor_operation12element_wise11PassThroughES9_S9_LNS7_6device18GemmSpecializationE0ELNS_25InMemoryDataOperationEnumE0ELi1ELi256ELi256ELi128ELi32ELi8ELi8ELi16ELi16ELi8ELi2ENS_8SequenceIJLi4ELi64ELi1EEEENSD_IJLi1ELi0ELi2EEEESF_Li2ELi8ELi8ELb0ELi1ESE_SF_SF_Li2ELi8ELi8ELb0ELi1ELi1ELi1ENSD_IJLi1ELi32ELi1ELi8EEEELi4ELNS_13LoopSchedulerE0ELNS_15PipelineVersionE0EDF16_DF16_EELb0EEEvNT_8ArgumentE
; %bb.0:
	s_endpgm
	.section	.rodata,"a",@progbits
	.p2align	6, 0x0
	.amdhsa_kernel _ZN2ck27kernel_gemm_xdl_cshuffle_v1INS_43GridwiseGemm_k0mk1_k0nk1_mn_xdl_cshuffle_v1INS_13tensor_layout4gemm8RowMajorENS3_11ColumnMajorES4_NS_9f8_fnuz_tEDF16_fDF16_DF16_NS_16tensor_operation12element_wise11PassThroughES9_S9_LNS7_6device18GemmSpecializationE0ELNS_25InMemoryDataOperationEnumE0ELi1ELi256ELi256ELi128ELi32ELi8ELi8ELi16ELi16ELi8ELi2ENS_8SequenceIJLi4ELi64ELi1EEEENSD_IJLi1ELi0ELi2EEEESF_Li2ELi8ELi8ELb0ELi1ESE_SF_SF_Li2ELi8ELi8ELb0ELi1ELi1ELi1ENSD_IJLi1ELi32ELi1ELi8EEEELi4ELNS_13LoopSchedulerE0ELNS_15PipelineVersionE0EDF16_DF16_EELb0EEEvNT_8ArgumentE
		.amdhsa_group_segment_fixed_size 0
		.amdhsa_private_segment_fixed_size 0
		.amdhsa_kernarg_size 96
		.amdhsa_user_sgpr_count 6
		.amdhsa_user_sgpr_private_segment_buffer 1
		.amdhsa_user_sgpr_dispatch_ptr 0
		.amdhsa_user_sgpr_queue_ptr 0
		.amdhsa_user_sgpr_kernarg_segment_ptr 1
		.amdhsa_user_sgpr_dispatch_id 0
		.amdhsa_user_sgpr_flat_scratch_init 0
		.amdhsa_user_sgpr_kernarg_preload_length 0
		.amdhsa_user_sgpr_kernarg_preload_offset 0
		.amdhsa_user_sgpr_private_segment_size 0
		.amdhsa_uses_dynamic_stack 0
		.amdhsa_system_sgpr_private_segment_wavefront_offset 0
		.amdhsa_system_sgpr_workgroup_id_x 1
		.amdhsa_system_sgpr_workgroup_id_y 0
		.amdhsa_system_sgpr_workgroup_id_z 0
		.amdhsa_system_sgpr_workgroup_info 0
		.amdhsa_system_vgpr_workitem_id 0
		.amdhsa_next_free_vgpr 1
		.amdhsa_next_free_sgpr 0
		.amdhsa_accum_offset 4
		.amdhsa_reserve_vcc 0
		.amdhsa_reserve_flat_scratch 0
		.amdhsa_float_round_mode_32 0
		.amdhsa_float_round_mode_16_64 0
		.amdhsa_float_denorm_mode_32 3
		.amdhsa_float_denorm_mode_16_64 3
		.amdhsa_dx10_clamp 1
		.amdhsa_ieee_mode 1
		.amdhsa_fp16_overflow 0
		.amdhsa_tg_split 0
		.amdhsa_exception_fp_ieee_invalid_op 0
		.amdhsa_exception_fp_denorm_src 0
		.amdhsa_exception_fp_ieee_div_zero 0
		.amdhsa_exception_fp_ieee_overflow 0
		.amdhsa_exception_fp_ieee_underflow 0
		.amdhsa_exception_fp_ieee_inexact 0
		.amdhsa_exception_int_div_zero 0
	.end_amdhsa_kernel
	.section	.text._ZN2ck27kernel_gemm_xdl_cshuffle_v1INS_43GridwiseGemm_k0mk1_k0nk1_mn_xdl_cshuffle_v1INS_13tensor_layout4gemm8RowMajorENS3_11ColumnMajorES4_NS_9f8_fnuz_tEDF16_fDF16_DF16_NS_16tensor_operation12element_wise11PassThroughES9_S9_LNS7_6device18GemmSpecializationE0ELNS_25InMemoryDataOperationEnumE0ELi1ELi256ELi256ELi128ELi32ELi8ELi8ELi16ELi16ELi8ELi2ENS_8SequenceIJLi4ELi64ELi1EEEENSD_IJLi1ELi0ELi2EEEESF_Li2ELi8ELi8ELb0ELi1ESE_SF_SF_Li2ELi8ELi8ELb0ELi1ELi1ELi1ENSD_IJLi1ELi32ELi1ELi8EEEELi4ELNS_13LoopSchedulerE0ELNS_15PipelineVersionE0EDF16_DF16_EELb0EEEvNT_8ArgumentE,"axG",@progbits,_ZN2ck27kernel_gemm_xdl_cshuffle_v1INS_43GridwiseGemm_k0mk1_k0nk1_mn_xdl_cshuffle_v1INS_13tensor_layout4gemm8RowMajorENS3_11ColumnMajorES4_NS_9f8_fnuz_tEDF16_fDF16_DF16_NS_16tensor_operation12element_wise11PassThroughES9_S9_LNS7_6device18GemmSpecializationE0ELNS_25InMemoryDataOperationEnumE0ELi1ELi256ELi256ELi128ELi32ELi8ELi8ELi16ELi16ELi8ELi2ENS_8SequenceIJLi4ELi64ELi1EEEENSD_IJLi1ELi0ELi2EEEESF_Li2ELi8ELi8ELb0ELi1ESE_SF_SF_Li2ELi8ELi8ELb0ELi1ELi1ELi1ENSD_IJLi1ELi32ELi1ELi8EEEELi4ELNS_13LoopSchedulerE0ELNS_15PipelineVersionE0EDF16_DF16_EELb0EEEvNT_8ArgumentE,comdat
.Lfunc_end4:
	.size	_ZN2ck27kernel_gemm_xdl_cshuffle_v1INS_43GridwiseGemm_k0mk1_k0nk1_mn_xdl_cshuffle_v1INS_13tensor_layout4gemm8RowMajorENS3_11ColumnMajorES4_NS_9f8_fnuz_tEDF16_fDF16_DF16_NS_16tensor_operation12element_wise11PassThroughES9_S9_LNS7_6device18GemmSpecializationE0ELNS_25InMemoryDataOperationEnumE0ELi1ELi256ELi256ELi128ELi32ELi8ELi8ELi16ELi16ELi8ELi2ENS_8SequenceIJLi4ELi64ELi1EEEENSD_IJLi1ELi0ELi2EEEESF_Li2ELi8ELi8ELb0ELi1ESE_SF_SF_Li2ELi8ELi8ELb0ELi1ELi1ELi1ENSD_IJLi1ELi32ELi1ELi8EEEELi4ELNS_13LoopSchedulerE0ELNS_15PipelineVersionE0EDF16_DF16_EELb0EEEvNT_8ArgumentE, .Lfunc_end4-_ZN2ck27kernel_gemm_xdl_cshuffle_v1INS_43GridwiseGemm_k0mk1_k0nk1_mn_xdl_cshuffle_v1INS_13tensor_layout4gemm8RowMajorENS3_11ColumnMajorES4_NS_9f8_fnuz_tEDF16_fDF16_DF16_NS_16tensor_operation12element_wise11PassThroughES9_S9_LNS7_6device18GemmSpecializationE0ELNS_25InMemoryDataOperationEnumE0ELi1ELi256ELi256ELi128ELi32ELi8ELi8ELi16ELi16ELi8ELi2ENS_8SequenceIJLi4ELi64ELi1EEEENSD_IJLi1ELi0ELi2EEEESF_Li2ELi8ELi8ELb0ELi1ESE_SF_SF_Li2ELi8ELi8ELb0ELi1ELi1ELi1ENSD_IJLi1ELi32ELi1ELi8EEEELi4ELNS_13LoopSchedulerE0ELNS_15PipelineVersionE0EDF16_DF16_EELb0EEEvNT_8ArgumentE
                                        ; -- End function
	.section	.AMDGPU.csdata,"",@progbits
; Kernel info:
; codeLenInByte = 4
; NumSgprs: 4
; NumVgprs: 0
; NumAgprs: 0
; TotalNumVgprs: 0
; ScratchSize: 0
; MemoryBound: 0
; FloatMode: 240
; IeeeMode: 1
; LDSByteSize: 0 bytes/workgroup (compile time only)
; SGPRBlocks: 0
; VGPRBlocks: 0
; NumSGPRsForWavesPerEU: 4
; NumVGPRsForWavesPerEU: 1
; AccumOffset: 4
; Occupancy: 8
; WaveLimiterHint : 0
; COMPUTE_PGM_RSRC2:SCRATCH_EN: 0
; COMPUTE_PGM_RSRC2:USER_SGPR: 6
; COMPUTE_PGM_RSRC2:TRAP_HANDLER: 0
; COMPUTE_PGM_RSRC2:TGID_X_EN: 1
; COMPUTE_PGM_RSRC2:TGID_Y_EN: 0
; COMPUTE_PGM_RSRC2:TGID_Z_EN: 0
; COMPUTE_PGM_RSRC2:TIDIG_COMP_CNT: 0
; COMPUTE_PGM_RSRC3_GFX90A:ACCUM_OFFSET: 0
; COMPUTE_PGM_RSRC3_GFX90A:TG_SPLIT: 0
	.section	.text._ZN2ck17naive_gemm_kernelINS_13tensor_layout4gemm8RowMajorENS2_11ColumnMajorES3_NS_9f8_fnuz_tEDF16_DF16_fNS_16tensor_operation12element_wise11PassThroughES8_S8_DF16_DF16_EEvPKT2_PKT3_PT4_iiiT6_T7_T8_,"axG",@progbits,_ZN2ck17naive_gemm_kernelINS_13tensor_layout4gemm8RowMajorENS2_11ColumnMajorES3_NS_9f8_fnuz_tEDF16_DF16_fNS_16tensor_operation12element_wise11PassThroughES8_S8_DF16_DF16_EEvPKT2_PKT3_PT4_iiiT6_T7_T8_,comdat
	.protected	_ZN2ck17naive_gemm_kernelINS_13tensor_layout4gemm8RowMajorENS2_11ColumnMajorES3_NS_9f8_fnuz_tEDF16_DF16_fNS_16tensor_operation12element_wise11PassThroughES8_S8_DF16_DF16_EEvPKT2_PKT3_PT4_iiiT6_T7_T8_ ; -- Begin function _ZN2ck17naive_gemm_kernelINS_13tensor_layout4gemm8RowMajorENS2_11ColumnMajorES3_NS_9f8_fnuz_tEDF16_DF16_fNS_16tensor_operation12element_wise11PassThroughES8_S8_DF16_DF16_EEvPKT2_PKT3_PT4_iiiT6_T7_T8_
	.globl	_ZN2ck17naive_gemm_kernelINS_13tensor_layout4gemm8RowMajorENS2_11ColumnMajorES3_NS_9f8_fnuz_tEDF16_DF16_fNS_16tensor_operation12element_wise11PassThroughES8_S8_DF16_DF16_EEvPKT2_PKT3_PT4_iiiT6_T7_T8_
	.p2align	8
	.type	_ZN2ck17naive_gemm_kernelINS_13tensor_layout4gemm8RowMajorENS2_11ColumnMajorES3_NS_9f8_fnuz_tEDF16_DF16_fNS_16tensor_operation12element_wise11PassThroughES8_S8_DF16_DF16_EEvPKT2_PKT3_PT4_iiiT6_T7_T8_,@function
_ZN2ck17naive_gemm_kernelINS_13tensor_layout4gemm8RowMajorENS2_11ColumnMajorES3_NS_9f8_fnuz_tEDF16_DF16_fNS_16tensor_operation12element_wise11PassThroughES8_S8_DF16_DF16_EEvPKT2_PKT3_PT4_iiiT6_T7_T8_: ; @_ZN2ck17naive_gemm_kernelINS_13tensor_layout4gemm8RowMajorENS2_11ColumnMajorES3_NS_9f8_fnuz_tEDF16_DF16_fNS_16tensor_operation12element_wise11PassThroughES8_S8_DF16_DF16_EEvPKT2_PKT3_PT4_iiiT6_T7_T8_
; %bb.0:
	s_load_dword s0, s[4:5], 0x34
	s_load_dwordx4 s[8:11], s[4:5], 0x18
	v_and_b32_e32 v1, 0x3ff, v0
	v_bfe_u32 v0, v0, 10, 10
	s_waitcnt lgkmcnt(0)
	s_lshr_b32 s1, s0, 16
	s_and_b32 s0, s0, 0xffff
	s_mul_i32 s6, s6, s0
	s_mul_i32 s7, s7, s1
	v_add_u32_e32 v1, s6, v1
	v_add_u32_e32 v0, s7, v0
	v_cmp_gt_i32_e32 vcc, s8, v1
	v_cmp_gt_i32_e64 s[0:1], s9, v0
	s_and_b64 s[0:1], vcc, s[0:1]
	s_and_saveexec_b64 s[2:3], s[0:1]
	s_cbranch_execz .LBB5_15
; %bb.1:
	s_load_dwordx2 s[6:7], s[4:5], 0x10
	s_cmp_lt_i32 s10, 1
	s_cbranch_scc1 .LBB5_13
; %bb.2:
	s_load_dwordx4 s[0:3], s[4:5], 0x0
	v_mul_lo_u32 v3, v1, s10
	v_ashrrev_i32_e32 v5, 31, v3
	v_mul_lo_u32 v2, v0, s10
	s_movk_i32 s8, 0x7f
	s_waitcnt lgkmcnt(0)
	v_mov_b32_e32 v6, s1
	v_add_co_u32_e32 v4, vcc, s0, v3
	v_addc_co_u32_e32 v5, vcc, v6, v5, vcc
	v_mov_b32_e32 v6, 0
	s_movk_i32 s11, 0x80
	v_mov_b32_e32 v7, s3
	v_mov_b32_e32 v8, 0x1c00
	s_branch .LBB5_4
.LBB5_3:                                ;   in Loop: Header=BB5_4 Depth=1
	s_or_b64 exec, exec, s[4:5]
	v_ashrrev_i32_e32 v3, 31, v2
	v_lshlrev_b64 v[10:11], 1, v[2:3]
	v_add_co_u32_e32 v10, vcc, s2, v10
	v_addc_co_u32_e32 v11, vcc, v7, v11, vcc
	global_load_ushort v3, v[10:11], off
	s_add_i32 s10, s10, -1
	v_add_co_u32_e32 v4, vcc, 1, v4
	v_add_u32_e32 v2, 1, v2
	s_cmp_eq_u32 s10, 0
	v_addc_co_u32_e32 v5, vcc, 0, v5, vcc
	s_waitcnt vmcnt(0)
	v_fma_mix_f32 v6, v9, v3, v6 op_sel_hi:[1,1,0]
	s_cbranch_scc1 .LBB5_12
.LBB5_4:                                ; =>This Inner Loop Header: Depth=1
	global_load_ubyte v3, v[4:5], off
	s_mov_b64 s[0:1], 0
                                        ; implicit-def: $sgpr3
	s_waitcnt vmcnt(0)
	v_cmp_lt_i16_e32 vcc, s8, v3
	s_and_saveexec_b64 s[4:5], vcc
	s_xor_b64 s[4:5], exec, s[4:5]
	s_cbranch_execnz .LBB5_7
; %bb.5:                                ;   in Loop: Header=BB5_4 Depth=1
	s_or_saveexec_b64 s[4:5], s[4:5]
	v_mov_b32_e32 v9, s3
	s_xor_b64 exec, exec, s[4:5]
	s_cbranch_execnz .LBB5_10
.LBB5_6:                                ;   in Loop: Header=BB5_4 Depth=1
	s_or_b64 exec, exec, s[4:5]
	s_and_saveexec_b64 s[4:5], s[0:1]
	s_cbranch_execz .LBB5_3
	s_branch .LBB5_11
.LBB5_7:                                ;   in Loop: Header=BB5_4 Depth=1
	v_cmp_eq_u16_e32 vcc, s11, v3
	s_mov_b64 s[0:1], -1
                                        ; implicit-def: $sgpr3
	s_and_saveexec_b64 s[12:13], vcc
; %bb.8:                                ;   in Loop: Header=BB5_4 Depth=1
	s_movk_i32 s3, 0x7c01
	s_xor_b64 s[0:1], exec, -1
; %bb.9:                                ;   in Loop: Header=BB5_4 Depth=1
	s_or_b64 exec, exec, s[12:13]
	s_and_b64 s[0:1], s[0:1], exec
	s_or_saveexec_b64 s[4:5], s[4:5]
	v_mov_b32_e32 v9, s3
	s_xor_b64 exec, exec, s[4:5]
	s_cbranch_execz .LBB5_6
.LBB5_10:                               ;   in Loop: Header=BB5_4 Depth=1
	v_cmp_ne_u16_e32 vcc, 0, v3
	s_andn2_b64 s[0:1], s[0:1], exec
	s_and_b64 s[12:13], vcc, exec
	v_mov_b32_e32 v9, 0
	s_or_b64 s[0:1], s[0:1], s[12:13]
	s_or_b64 exec, exec, s[4:5]
	s_and_saveexec_b64 s[4:5], s[0:1]
	s_cbranch_execz .LBB5_3
.LBB5_11:                               ;   in Loop: Header=BB5_4 Depth=1
	v_and_b32_e32 v9, 7, v3
	v_ffbh_u32_e32 v12, v9
	v_min_u32_e32 v12, 32, v12
	v_lshrrev_b16_e32 v10, 7, v3
	v_lshrrev_b16_e32 v3, 3, v3
	v_subrev_u32_e32 v13, 28, v12
	v_and_b32_e32 v3, 15, v3
	v_lshlrev_b32_e32 v13, v13, v9
	v_and_b32_e32 v11, 0xffff, v3
	v_sub_u32_e32 v12, 29, v12
	v_and_b32_e32 v13, 7, v13
	v_cmp_eq_u16_e32 vcc, 0, v3
	v_cndmask_b32_e32 v3, v9, v13, vcc
	v_cndmask_b32_e32 v9, v11, v12, vcc
	v_lshlrev_b32_e32 v3, 7, v3
	v_lshlrev_b32_e32 v10, 15, v10
	v_lshl_add_u32 v9, v9, 10, v8
	v_or3_b32 v9, v10, v9, v3
	s_branch .LBB5_3
.LBB5_12:
	v_cvt_f16_f32_e32 v2, v6
	s_branch .LBB5_14
.LBB5_13:
	v_mov_b32_e32 v2, 0
.LBB5_14:
	v_mad_u64_u32 v[0:1], s[0:1], v1, s9, v[0:1]
	v_ashrrev_i32_e32 v1, 31, v0
	v_lshlrev_b64 v[0:1], 1, v[0:1]
	s_waitcnt lgkmcnt(0)
	v_mov_b32_e32 v3, s7
	v_add_co_u32_e32 v0, vcc, s6, v0
	v_addc_co_u32_e32 v1, vcc, v3, v1, vcc
	global_store_short v[0:1], v2, off
.LBB5_15:
	s_endpgm
	.section	.rodata,"a",@progbits
	.p2align	6, 0x0
	.amdhsa_kernel _ZN2ck17naive_gemm_kernelINS_13tensor_layout4gemm8RowMajorENS2_11ColumnMajorES3_NS_9f8_fnuz_tEDF16_DF16_fNS_16tensor_operation12element_wise11PassThroughES8_S8_DF16_DF16_EEvPKT2_PKT3_PT4_iiiT6_T7_T8_
		.amdhsa_group_segment_fixed_size 0
		.amdhsa_private_segment_fixed_size 0
		.amdhsa_kernarg_size 296
		.amdhsa_user_sgpr_count 6
		.amdhsa_user_sgpr_private_segment_buffer 1
		.amdhsa_user_sgpr_dispatch_ptr 0
		.amdhsa_user_sgpr_queue_ptr 0
		.amdhsa_user_sgpr_kernarg_segment_ptr 1
		.amdhsa_user_sgpr_dispatch_id 0
		.amdhsa_user_sgpr_flat_scratch_init 0
		.amdhsa_user_sgpr_kernarg_preload_length 0
		.amdhsa_user_sgpr_kernarg_preload_offset 0
		.amdhsa_user_sgpr_private_segment_size 0
		.amdhsa_uses_dynamic_stack 0
		.amdhsa_system_sgpr_private_segment_wavefront_offset 0
		.amdhsa_system_sgpr_workgroup_id_x 1
		.amdhsa_system_sgpr_workgroup_id_y 1
		.amdhsa_system_sgpr_workgroup_id_z 0
		.amdhsa_system_sgpr_workgroup_info 0
		.amdhsa_system_vgpr_workitem_id 1
		.amdhsa_next_free_vgpr 14
		.amdhsa_next_free_sgpr 14
		.amdhsa_accum_offset 16
		.amdhsa_reserve_vcc 1
		.amdhsa_reserve_flat_scratch 0
		.amdhsa_float_round_mode_32 0
		.amdhsa_float_round_mode_16_64 0
		.amdhsa_float_denorm_mode_32 3
		.amdhsa_float_denorm_mode_16_64 3
		.amdhsa_dx10_clamp 1
		.amdhsa_ieee_mode 1
		.amdhsa_fp16_overflow 0
		.amdhsa_tg_split 0
		.amdhsa_exception_fp_ieee_invalid_op 0
		.amdhsa_exception_fp_denorm_src 0
		.amdhsa_exception_fp_ieee_div_zero 0
		.amdhsa_exception_fp_ieee_overflow 0
		.amdhsa_exception_fp_ieee_underflow 0
		.amdhsa_exception_fp_ieee_inexact 0
		.amdhsa_exception_int_div_zero 0
	.end_amdhsa_kernel
	.section	.text._ZN2ck17naive_gemm_kernelINS_13tensor_layout4gemm8RowMajorENS2_11ColumnMajorES3_NS_9f8_fnuz_tEDF16_DF16_fNS_16tensor_operation12element_wise11PassThroughES8_S8_DF16_DF16_EEvPKT2_PKT3_PT4_iiiT6_T7_T8_,"axG",@progbits,_ZN2ck17naive_gemm_kernelINS_13tensor_layout4gemm8RowMajorENS2_11ColumnMajorES3_NS_9f8_fnuz_tEDF16_DF16_fNS_16tensor_operation12element_wise11PassThroughES8_S8_DF16_DF16_EEvPKT2_PKT3_PT4_iiiT6_T7_T8_,comdat
.Lfunc_end5:
	.size	_ZN2ck17naive_gemm_kernelINS_13tensor_layout4gemm8RowMajorENS2_11ColumnMajorES3_NS_9f8_fnuz_tEDF16_DF16_fNS_16tensor_operation12element_wise11PassThroughES8_S8_DF16_DF16_EEvPKT2_PKT3_PT4_iiiT6_T7_T8_, .Lfunc_end5-_ZN2ck17naive_gemm_kernelINS_13tensor_layout4gemm8RowMajorENS2_11ColumnMajorES3_NS_9f8_fnuz_tEDF16_DF16_fNS_16tensor_operation12element_wise11PassThroughES8_S8_DF16_DF16_EEvPKT2_PKT3_PT4_iiiT6_T7_T8_
                                        ; -- End function
	.section	.AMDGPU.csdata,"",@progbits
; Kernel info:
; codeLenInByte = 532
; NumSgprs: 18
; NumVgprs: 14
; NumAgprs: 0
; TotalNumVgprs: 14
; ScratchSize: 0
; MemoryBound: 0
; FloatMode: 240
; IeeeMode: 1
; LDSByteSize: 0 bytes/workgroup (compile time only)
; SGPRBlocks: 2
; VGPRBlocks: 1
; NumSGPRsForWavesPerEU: 18
; NumVGPRsForWavesPerEU: 14
; AccumOffset: 16
; Occupancy: 8
; WaveLimiterHint : 0
; COMPUTE_PGM_RSRC2:SCRATCH_EN: 0
; COMPUTE_PGM_RSRC2:USER_SGPR: 6
; COMPUTE_PGM_RSRC2:TRAP_HANDLER: 0
; COMPUTE_PGM_RSRC2:TGID_X_EN: 1
; COMPUTE_PGM_RSRC2:TGID_Y_EN: 1
; COMPUTE_PGM_RSRC2:TGID_Z_EN: 0
; COMPUTE_PGM_RSRC2:TIDIG_COMP_CNT: 1
; COMPUTE_PGM_RSRC3_GFX90A:ACCUM_OFFSET: 3
; COMPUTE_PGM_RSRC3_GFX90A:TG_SPLIT: 0
	.text
	.p2alignl 6, 3212836864
	.fill 256, 4, 3212836864
	.type	__hip_cuid_4381056f878aef7,@object ; @__hip_cuid_4381056f878aef7
	.section	.bss,"aw",@nobits
	.globl	__hip_cuid_4381056f878aef7
__hip_cuid_4381056f878aef7:
	.byte	0                               ; 0x0
	.size	__hip_cuid_4381056f878aef7, 1

	.ident	"AMD clang version 19.0.0git (https://github.com/RadeonOpenCompute/llvm-project roc-6.4.0 25133 c7fe45cf4b819c5991fe208aaa96edf142730f1d)"
	.section	".note.GNU-stack","",@progbits
	.addrsig
	.addrsig_sym __hip_cuid_4381056f878aef7
	.amdgpu_metadata
---
amdhsa.kernels:
  - .agpr_count:     0
    .args:           []
    .group_segment_fixed_size: 0
    .kernarg_segment_align: 4
    .kernarg_segment_size: 0
    .language:       OpenCL C
    .language_version:
      - 2
      - 0
    .max_flat_workgroup_size: 1024
    .name:           _ZN2ckL12flush_icacheEv
    .private_segment_fixed_size: 0
    .sgpr_count:     4
    .sgpr_spill_count: 0
    .symbol:         _ZN2ckL12flush_icacheEv.kd
    .uniform_work_group_size: 1
    .uses_dynamic_stack: false
    .vgpr_count:     0
    .vgpr_spill_count: 0
    .wavefront_size: 64
  - .agpr_count:     0
    .args:
      - .offset:         0
        .size:           96
        .value_kind:     by_value
    .group_segment_fixed_size: 24672
    .kernarg_segment_align: 8
    .kernarg_segment_size: 96
    .language:       OpenCL C
    .language_version:
      - 2
      - 0
    .max_flat_workgroup_size: 256
    .name:           _ZN2ck27kernel_gemm_xdl_cshuffle_v1INS_43GridwiseGemm_k0mk1_k0nk1_mn_xdl_cshuffle_v1INS_13tensor_layout4gemm8RowMajorENS3_11ColumnMajorES4_NS_9f8_fnuz_tEDF16_fDF16_DF16_NS_16tensor_operation12element_wise11PassThroughES9_S9_LNS7_6device18GemmSpecializationE0ELNS_25InMemoryDataOperationEnumE0ELi1ELi256ELi256ELi128ELi32ELi8ELi8ELi16ELi16ELi8ELi4ENS_8SequenceIJLi4ELi64ELi1EEEENSD_IJLi1ELi0ELi2EEEESF_Li2ELi8ELi8ELb0ELi1ESE_SF_SF_Li2ELi8ELi8ELb0ELi1ELi1ELi1ENSD_IJLi1ELi32ELi1ELi8EEEELi4ELNS_13LoopSchedulerE0ELNS_15PipelineVersionE0EDF16_DF16_EELb1EEEvNT_8ArgumentE
    .private_segment_fixed_size: 0
    .sgpr_count:     36
    .sgpr_spill_count: 0
    .symbol:         _ZN2ck27kernel_gemm_xdl_cshuffle_v1INS_43GridwiseGemm_k0mk1_k0nk1_mn_xdl_cshuffle_v1INS_13tensor_layout4gemm8RowMajorENS3_11ColumnMajorES4_NS_9f8_fnuz_tEDF16_fDF16_DF16_NS_16tensor_operation12element_wise11PassThroughES9_S9_LNS7_6device18GemmSpecializationE0ELNS_25InMemoryDataOperationEnumE0ELi1ELi256ELi256ELi128ELi32ELi8ELi8ELi16ELi16ELi8ELi4ENS_8SequenceIJLi4ELi64ELi1EEEENSD_IJLi1ELi0ELi2EEEESF_Li2ELi8ELi8ELb0ELi1ESE_SF_SF_Li2ELi8ELi8ELb0ELi1ELi1ELi1ENSD_IJLi1ELi32ELi1ELi8EEEELi4ELNS_13LoopSchedulerE0ELNS_15PipelineVersionE0EDF16_DF16_EELb1EEEvNT_8ArgumentE.kd
    .uniform_work_group_size: 1
    .uses_dynamic_stack: false
    .vgpr_count:     200
    .vgpr_spill_count: 0
    .wavefront_size: 64
  - .agpr_count:     0
    .args:
      - .offset:         0
        .size:           96
        .value_kind:     by_value
    .group_segment_fixed_size: 24672
    .kernarg_segment_align: 8
    .kernarg_segment_size: 96
    .language:       OpenCL C
    .language_version:
      - 2
      - 0
    .max_flat_workgroup_size: 256
    .name:           _ZN2ck27kernel_gemm_xdl_cshuffle_v1INS_43GridwiseGemm_k0mk1_k0nk1_mn_xdl_cshuffle_v1INS_13tensor_layout4gemm8RowMajorENS3_11ColumnMajorES4_NS_9f8_fnuz_tEDF16_fDF16_DF16_NS_16tensor_operation12element_wise11PassThroughES9_S9_LNS7_6device18GemmSpecializationE0ELNS_25InMemoryDataOperationEnumE0ELi1ELi256ELi256ELi128ELi32ELi8ELi8ELi16ELi16ELi8ELi4ENS_8SequenceIJLi4ELi64ELi1EEEENSD_IJLi1ELi0ELi2EEEESF_Li2ELi8ELi8ELb0ELi1ESE_SF_SF_Li2ELi8ELi8ELb0ELi1ELi1ELi1ENSD_IJLi1ELi32ELi1ELi8EEEELi4ELNS_13LoopSchedulerE0ELNS_15PipelineVersionE0EDF16_DF16_EELb0EEEvNT_8ArgumentE
    .private_segment_fixed_size: 0
    .sgpr_count:     30
    .sgpr_spill_count: 0
    .symbol:         _ZN2ck27kernel_gemm_xdl_cshuffle_v1INS_43GridwiseGemm_k0mk1_k0nk1_mn_xdl_cshuffle_v1INS_13tensor_layout4gemm8RowMajorENS3_11ColumnMajorES4_NS_9f8_fnuz_tEDF16_fDF16_DF16_NS_16tensor_operation12element_wise11PassThroughES9_S9_LNS7_6device18GemmSpecializationE0ELNS_25InMemoryDataOperationEnumE0ELi1ELi256ELi256ELi128ELi32ELi8ELi8ELi16ELi16ELi8ELi4ENS_8SequenceIJLi4ELi64ELi1EEEENSD_IJLi1ELi0ELi2EEEESF_Li2ELi8ELi8ELb0ELi1ESE_SF_SF_Li2ELi8ELi8ELb0ELi1ELi1ELi1ENSD_IJLi1ELi32ELi1ELi8EEEELi4ELNS_13LoopSchedulerE0ELNS_15PipelineVersionE0EDF16_DF16_EELb0EEEvNT_8ArgumentE.kd
    .uniform_work_group_size: 1
    .uses_dynamic_stack: false
    .vgpr_count:     79
    .vgpr_spill_count: 0
    .wavefront_size: 64
  - .agpr_count:     0
    .args:
      - .offset:         0
        .size:           96
        .value_kind:     by_value
    .group_segment_fixed_size: 0
    .kernarg_segment_align: 8
    .kernarg_segment_size: 96
    .language:       OpenCL C
    .language_version:
      - 2
      - 0
    .max_flat_workgroup_size: 256
    .name:           _ZN2ck27kernel_gemm_xdl_cshuffle_v1INS_43GridwiseGemm_k0mk1_k0nk1_mn_xdl_cshuffle_v1INS_13tensor_layout4gemm8RowMajorENS3_11ColumnMajorES4_NS_9f8_fnuz_tEDF16_fDF16_DF16_NS_16tensor_operation12element_wise11PassThroughES9_S9_LNS7_6device18GemmSpecializationE0ELNS_25InMemoryDataOperationEnumE0ELi1ELi256ELi256ELi128ELi32ELi8ELi8ELi16ELi16ELi8ELi2ENS_8SequenceIJLi4ELi64ELi1EEEENSD_IJLi1ELi0ELi2EEEESF_Li2ELi8ELi8ELb0ELi1ESE_SF_SF_Li2ELi8ELi8ELb0ELi1ELi1ELi1ENSD_IJLi1ELi32ELi1ELi8EEEELi4ELNS_13LoopSchedulerE0ELNS_15PipelineVersionE0EDF16_DF16_EELb1EEEvNT_8ArgumentE
    .private_segment_fixed_size: 0
    .sgpr_count:     4
    .sgpr_spill_count: 0
    .symbol:         _ZN2ck27kernel_gemm_xdl_cshuffle_v1INS_43GridwiseGemm_k0mk1_k0nk1_mn_xdl_cshuffle_v1INS_13tensor_layout4gemm8RowMajorENS3_11ColumnMajorES4_NS_9f8_fnuz_tEDF16_fDF16_DF16_NS_16tensor_operation12element_wise11PassThroughES9_S9_LNS7_6device18GemmSpecializationE0ELNS_25InMemoryDataOperationEnumE0ELi1ELi256ELi256ELi128ELi32ELi8ELi8ELi16ELi16ELi8ELi2ENS_8SequenceIJLi4ELi64ELi1EEEENSD_IJLi1ELi0ELi2EEEESF_Li2ELi8ELi8ELb0ELi1ESE_SF_SF_Li2ELi8ELi8ELb0ELi1ELi1ELi1ENSD_IJLi1ELi32ELi1ELi8EEEELi4ELNS_13LoopSchedulerE0ELNS_15PipelineVersionE0EDF16_DF16_EELb1EEEvNT_8ArgumentE.kd
    .uniform_work_group_size: 1
    .uses_dynamic_stack: false
    .vgpr_count:     0
    .vgpr_spill_count: 0
    .wavefront_size: 64
  - .agpr_count:     0
    .args:
      - .offset:         0
        .size:           96
        .value_kind:     by_value
    .group_segment_fixed_size: 0
    .kernarg_segment_align: 8
    .kernarg_segment_size: 96
    .language:       OpenCL C
    .language_version:
      - 2
      - 0
    .max_flat_workgroup_size: 256
    .name:           _ZN2ck27kernel_gemm_xdl_cshuffle_v1INS_43GridwiseGemm_k0mk1_k0nk1_mn_xdl_cshuffle_v1INS_13tensor_layout4gemm8RowMajorENS3_11ColumnMajorES4_NS_9f8_fnuz_tEDF16_fDF16_DF16_NS_16tensor_operation12element_wise11PassThroughES9_S9_LNS7_6device18GemmSpecializationE0ELNS_25InMemoryDataOperationEnumE0ELi1ELi256ELi256ELi128ELi32ELi8ELi8ELi16ELi16ELi8ELi2ENS_8SequenceIJLi4ELi64ELi1EEEENSD_IJLi1ELi0ELi2EEEESF_Li2ELi8ELi8ELb0ELi1ESE_SF_SF_Li2ELi8ELi8ELb0ELi1ELi1ELi1ENSD_IJLi1ELi32ELi1ELi8EEEELi4ELNS_13LoopSchedulerE0ELNS_15PipelineVersionE0EDF16_DF16_EELb0EEEvNT_8ArgumentE
    .private_segment_fixed_size: 0
    .sgpr_count:     4
    .sgpr_spill_count: 0
    .symbol:         _ZN2ck27kernel_gemm_xdl_cshuffle_v1INS_43GridwiseGemm_k0mk1_k0nk1_mn_xdl_cshuffle_v1INS_13tensor_layout4gemm8RowMajorENS3_11ColumnMajorES4_NS_9f8_fnuz_tEDF16_fDF16_DF16_NS_16tensor_operation12element_wise11PassThroughES9_S9_LNS7_6device18GemmSpecializationE0ELNS_25InMemoryDataOperationEnumE0ELi1ELi256ELi256ELi128ELi32ELi8ELi8ELi16ELi16ELi8ELi2ENS_8SequenceIJLi4ELi64ELi1EEEENSD_IJLi1ELi0ELi2EEEESF_Li2ELi8ELi8ELb0ELi1ESE_SF_SF_Li2ELi8ELi8ELb0ELi1ELi1ELi1ENSD_IJLi1ELi32ELi1ELi8EEEELi4ELNS_13LoopSchedulerE0ELNS_15PipelineVersionE0EDF16_DF16_EELb0EEEvNT_8ArgumentE.kd
    .uniform_work_group_size: 1
    .uses_dynamic_stack: false
    .vgpr_count:     0
    .vgpr_spill_count: 0
    .wavefront_size: 64
  - .agpr_count:     0
    .args:
      - .actual_access:  read_only
        .address_space:  global
        .offset:         0
        .size:           8
        .value_kind:     global_buffer
      - .actual_access:  read_only
        .address_space:  global
        .offset:         8
        .size:           8
        .value_kind:     global_buffer
      - .actual_access:  write_only
        .address_space:  global
        .offset:         16
        .size:           8
        .value_kind:     global_buffer
      - .offset:         24
        .size:           4
        .value_kind:     by_value
      - .offset:         28
        .size:           4
        .value_kind:     by_value
      - .offset:         32
        .size:           4
        .value_kind:     by_value
      - .offset:         36
        .size:           1
        .value_kind:     by_value
      - .offset:         37
        .size:           1
        .value_kind:     by_value
      - .offset:         38
        .size:           1
        .value_kind:     by_value
      - .offset:         40
        .size:           4
        .value_kind:     hidden_block_count_x
      - .offset:         44
        .size:           4
        .value_kind:     hidden_block_count_y
      - .offset:         48
        .size:           4
        .value_kind:     hidden_block_count_z
      - .offset:         52
        .size:           2
        .value_kind:     hidden_group_size_x
      - .offset:         54
        .size:           2
        .value_kind:     hidden_group_size_y
      - .offset:         56
        .size:           2
        .value_kind:     hidden_group_size_z
      - .offset:         58
        .size:           2
        .value_kind:     hidden_remainder_x
      - .offset:         60
        .size:           2
        .value_kind:     hidden_remainder_y
      - .offset:         62
        .size:           2
        .value_kind:     hidden_remainder_z
      - .offset:         80
        .size:           8
        .value_kind:     hidden_global_offset_x
      - .offset:         88
        .size:           8
        .value_kind:     hidden_global_offset_y
      - .offset:         96
        .size:           8
        .value_kind:     hidden_global_offset_z
      - .offset:         104
        .size:           2
        .value_kind:     hidden_grid_dims
    .group_segment_fixed_size: 0
    .kernarg_segment_align: 8
    .kernarg_segment_size: 296
    .language:       OpenCL C
    .language_version:
      - 2
      - 0
    .max_flat_workgroup_size: 256
    .name:           _ZN2ck17naive_gemm_kernelINS_13tensor_layout4gemm8RowMajorENS2_11ColumnMajorES3_NS_9f8_fnuz_tEDF16_DF16_fNS_16tensor_operation12element_wise11PassThroughES8_S8_DF16_DF16_EEvPKT2_PKT3_PT4_iiiT6_T7_T8_
    .private_segment_fixed_size: 0
    .sgpr_count:     18
    .sgpr_spill_count: 0
    .symbol:         _ZN2ck17naive_gemm_kernelINS_13tensor_layout4gemm8RowMajorENS2_11ColumnMajorES3_NS_9f8_fnuz_tEDF16_DF16_fNS_16tensor_operation12element_wise11PassThroughES8_S8_DF16_DF16_EEvPKT2_PKT3_PT4_iiiT6_T7_T8_.kd
    .uniform_work_group_size: 1
    .uses_dynamic_stack: false
    .vgpr_count:     14
    .vgpr_spill_count: 0
    .wavefront_size: 64
amdhsa.target:   amdgcn-amd-amdhsa--gfx90a
amdhsa.version:
  - 1
  - 2
...

	.end_amdgpu_metadata
